;; amdgpu-corpus repo=ROCm/rocFFT kind=compiled arch=gfx1201 opt=O3
	.text
	.amdgcn_target "amdgcn-amd-amdhsa--gfx1201"
	.amdhsa_code_object_version 6
	.protected	bluestein_single_back_len204_dim1_dp_op_CI_CI ; -- Begin function bluestein_single_back_len204_dim1_dp_op_CI_CI
	.globl	bluestein_single_back_len204_dim1_dp_op_CI_CI
	.p2align	8
	.type	bluestein_single_back_len204_dim1_dp_op_CI_CI,@function
bluestein_single_back_len204_dim1_dp_op_CI_CI: ; @bluestein_single_back_len204_dim1_dp_op_CI_CI
; %bb.0:
	s_load_b128 s[4:7], s[0:1], 0x28
	v_mul_u32_u24_e32 v1, 0xf10, v0
	s_mov_b32 s2, exec_lo
	s_delay_alu instid0(VALU_DEP_1) | instskip(NEXT) | instid1(VALU_DEP_1)
	v_lshrrev_b32_e32 v1, 16, v1
	v_mad_co_u64_u32 v[4:5], null, ttmp9, 7, v[1:2]
	v_mov_b32_e32 v5, 0
	s_wait_kmcnt 0x0
	s_delay_alu instid0(VALU_DEP_1)
	v_cmpx_gt_u64_e64 s[4:5], v[4:5]
	s_cbranch_execz .LBB0_15
; %bb.1:
	v_mul_hi_u32 v2, 0x24924925, v4
	v_mul_lo_u16 v1, v1, 17
	s_clause 0x1
	s_load_b64 s[12:13], s[0:1], 0x0
	s_load_b64 s[14:15], s[0:1], 0x38
	s_delay_alu instid0(VALU_DEP_1) | instskip(SKIP_1) | instid1(VALU_DEP_4)
	v_sub_nc_u16 v0, v0, v1
	v_mov_b32_e32 v1, v4
	v_sub_nc_u32_e32 v3, v4, v2
	s_delay_alu instid0(VALU_DEP_3) | instskip(NEXT) | instid1(VALU_DEP_2)
	v_cmp_gt_u16_e32 vcc_lo, 12, v0
	v_lshrrev_b32_e32 v3, 1, v3
	s_delay_alu instid0(VALU_DEP_1) | instskip(NEXT) | instid1(VALU_DEP_1)
	v_add_nc_u32_e32 v2, v3, v2
	v_lshrrev_b32_e32 v2, 2, v2
	s_delay_alu instid0(VALU_DEP_1) | instskip(SKIP_3) | instid1(VALU_DEP_2)
	v_mul_lo_u32 v2, v2, 7
	scratch_store_b64 off, v[1:2], off offset:12 ; 8-byte Folded Spill
	v_sub_nc_u32_e32 v1, v4, v2
	v_and_b32_e32 v2, 0xffff, v0
	v_mul_u32_u24_e32 v1, 0xcc, v1
	s_delay_alu instid0(VALU_DEP_2)
	v_or_b32_e32 v0, 48, v2
	v_lshlrev_b32_e32 v136, 4, v2
	v_or_b32_e32 v255, 0xc0, v2
	scratch_store_b32 off, v0, off offset:28 ; 4-byte Folded Spill
	v_or_b32_e32 v0, 0x60, v2
	scratch_store_b32 off, v0, off offset:24 ; 4-byte Folded Spill
	v_or_b32_e32 v0, 0x90, v2
	s_clause 0x1
	scratch_store_b32 off, v0, off offset:20
	scratch_store_b32 off, v1, off offset:4
	v_lshlrev_b32_e32 v0, 4, v1
	s_clause 0x1
	scratch_store_b32 off, v0, off offset:8
	scratch_store_b32 off, v2, off
	s_and_saveexec_b32 s3, vcc_lo
	s_cbranch_execz .LBB0_3
; %bb.2:
	s_load_b64 s[4:5], s[0:1], 0x18
	s_wait_kmcnt 0x0
	s_load_b128 s[8:11], s[4:5], 0x0
	s_clause 0x5
	global_load_b128 v[0:3], v136, s[12:13]
	global_load_b128 v[4:7], v136, s[12:13] offset:192
	global_load_b128 v[8:11], v136, s[12:13] offset:384
	global_load_b128 v[12:15], v136, s[12:13] offset:576
	global_load_b128 v[16:19], v136, s[12:13] offset:768
	global_load_b128 v[20:23], v136, s[12:13] offset:960
	s_clause 0x1
	scratch_load_b64 v[24:25], off, off offset:12
	scratch_load_b32 v177, off, off
	s_wait_kmcnt 0x0
	v_mad_co_u64_u32 v[42:43], null, s8, v255, 0
	s_mul_u64 s[4:5], s[8:9], 0xc0
	s_wait_loadcnt 0x1
	v_mov_b32_e32 v44, v24
	s_wait_loadcnt 0x0
	v_mad_co_u64_u32 v[34:35], null, s8, v177, 0
	v_or_b32_e32 v47, 48, v177
	v_or_b32_e32 v48, 0x60, v177
	v_mad_co_u64_u32 v[32:33], null, s10, v44, 0
	v_or_b32_e32 v49, 0x90, v177
	s_delay_alu instid0(VALU_DEP_4) | instskip(NEXT) | instid1(VALU_DEP_4)
	v_mad_co_u64_u32 v[36:37], null, s8, v47, 0
	v_mad_co_u64_u32 v[38:39], null, s8, v48, 0
	s_delay_alu instid0(VALU_DEP_3) | instskip(SKIP_1) | instid1(VALU_DEP_4)
	v_mad_co_u64_u32 v[40:41], null, s8, v49, 0
	v_mad_co_u64_u32 v[44:45], null, s11, v44, v[33:34]
	;; [unrolled: 1-line block ×3, first 2 shown]
	s_delay_alu instid0(VALU_DEP_4) | instskip(NEXT) | instid1(VALU_DEP_4)
	v_mad_co_u64_u32 v[46:47], null, s9, v47, v[37:38]
	v_mad_co_u64_u32 v[47:48], null, s9, v48, v[39:40]
	s_delay_alu instid0(VALU_DEP_4) | instskip(SKIP_3) | instid1(VALU_DEP_4)
	v_mov_b32_e32 v33, v44
	v_mad_co_u64_u32 v[48:49], null, s9, v49, v[41:42]
	v_mov_b32_e32 v35, v45
	v_mad_co_u64_u32 v[49:50], null, s9, v255, v[43:44]
	v_lshlrev_b64_e32 v[32:33], 4, v[32:33]
	v_mov_b32_e32 v37, v46
	s_delay_alu instid0(VALU_DEP_4)
	v_lshlrev_b64_e32 v[34:35], 4, v[34:35]
	v_mov_b32_e32 v39, v47
	v_mov_b32_e32 v41, v48
	s_clause 0x1
	global_load_b128 v[24:27], v136, s[12:13] offset:1152
	global_load_b128 v[28:31], v136, s[12:13] offset:1344
	v_mov_b32_e32 v43, v49
	v_add_co_u32 v44, s2, s6, v32
	v_lshlrev_b64_e32 v[36:37], 4, v[36:37]
	v_add_co_ci_u32_e64 v45, s2, s7, v33, s2
	v_lshlrev_b64_e32 v[38:39], 4, v[38:39]
	v_lshlrev_b64_e32 v[32:33], 4, v[42:43]
	v_add_co_u32 v42, s2, v44, v34
	s_wait_alu 0xf1ff
	v_add_co_ci_u32_e64 v43, s2, v45, v35, s2
	v_lshlrev_b64_e32 v[40:41], 4, v[40:41]
	v_add_co_u32 v52, s2, v44, v36
	s_wait_alu 0xf1ff
	v_add_co_ci_u32_e64 v53, s2, v45, v37, s2
	v_add_co_u32 v34, s2, v44, v38
	s_wait_alu 0xf1ff
	v_add_co_ci_u32_e64 v35, s2, v45, v39, s2
	;; [unrolled: 3-line block ×3, first 2 shown]
	s_wait_alu 0xfffe
	v_add_co_u32 v40, s2, v42, s4
	s_wait_alu 0xf1ff
	v_add_co_ci_u32_e64 v41, s2, s5, v43, s2
	v_add_co_u32 v84, s2, v44, v32
	s_wait_alu 0xf1ff
	v_add_co_ci_u32_e64 v85, s2, v45, v33, s2
	;; [unrolled: 3-line block ×3, first 2 shown]
	s_clause 0x2
	global_load_b128 v[32:35], v[34:35], off
	global_load_b128 v[36:39], v[42:43], off
	;; [unrolled: 1-line block ×3, first 2 shown]
	v_add_co_u32 v48, s2, v44, s4
	s_wait_alu 0xf1ff
	v_add_co_ci_u32_e64 v49, s2, s5, v45, s2
	s_mul_u64 s[8:9], s[8:9], 0x180
	s_wait_alu 0xfffe
	v_add_co_u32 v56, s2, v48, s8
	s_wait_alu 0xf1ff
	v_add_co_ci_u32_e64 v57, s2, s9, v49, s2
	s_clause 0x1
	global_load_b128 v[44:47], v[44:45], off
	global_load_b128 v[48:51], v[48:49], off
	v_add_co_u32 v60, s2, v56, s4
	s_wait_alu 0xf1ff
	v_add_co_ci_u32_e64 v61, s2, s5, v57, s2
	s_clause 0x1
	global_load_b128 v[52:55], v[52:53], off
	global_load_b128 v[56:59], v[56:57], off
	v_add_co_u32 v64, s2, v60, s4
	s_wait_alu 0xf1ff
	v_add_co_ci_u32_e64 v65, s2, s5, v61, s2
	global_load_b128 v[60:63], v[60:61], off
	v_add_co_u32 v68, s2, v64, s8
	s_wait_alu 0xf1ff
	v_add_co_ci_u32_e64 v69, s2, s9, v65, s2
	;; [unrolled: 4-line block ×4, first 2 shown]
	global_load_b128 v[72:75], v136, s[12:13] offset:1536
	global_load_b128 v[76:79], v[76:77], off
	global_load_b128 v[80:83], v136, s[12:13] offset:2304
	global_load_b128 v[84:87], v[84:85], off
	s_clause 0x1
	global_load_b128 v[88:91], v136, s[12:13] offset:3072
	global_load_b128 v[92:95], v136, s[12:13] offset:1728
	global_load_b128 v[96:99], v[96:97], off
	global_load_b128 v[100:103], v[104:105], off
	v_add_co_u32 v112, s2, v104, s8
	s_wait_alu 0xf1ff
	v_add_co_ci_u32_e64 v113, s2, s9, v105, s2
	s_clause 0x1
	global_load_b128 v[104:107], v136, s[12:13] offset:1920
	global_load_b128 v[108:111], v136, s[12:13] offset:2112
	v_add_co_u32 v120, s2, v112, s4
	s_wait_alu 0xf1ff
	v_add_co_ci_u32_e64 v121, s2, s5, v113, s2
	global_load_b128 v[112:115], v[112:113], off
	v_add_co_u32 v132, s2, v120, s4
	s_wait_alu 0xf1ff
	v_add_co_ci_u32_e64 v133, s2, s5, v121, s2
	global_load_b128 v[116:119], v136, s[12:13] offset:2496
	global_load_b128 v[120:123], v[120:121], off
	s_clause 0x1
	global_load_b128 v[124:127], v136, s[12:13] offset:2688
	global_load_b128 v[128:131], v136, s[12:13] offset:2880
	global_load_b128 v[132:135], v[132:133], off
	s_wait_loadcnt 0x18
	v_mul_f64_e32 v[137:138], v[38:39], v[2:3]
	s_wait_loadcnt 0x17
	v_mul_f64_e32 v[147:148], v[42:43], v[6:7]
	v_mul_f64_e32 v[149:150], v[40:41], v[6:7]
	;; [unrolled: 1-line block ×3, first 2 shown]
	s_wait_loadcnt 0x16
	v_mul_f64_e32 v[151:152], v[46:47], v[10:11]
	v_mul_f64_e32 v[10:11], v[44:45], v[10:11]
	s_wait_loadcnt 0x15
	v_mul_f64_e32 v[153:154], v[50:51], v[14:15]
	v_mul_f64_e32 v[155:156], v[48:49], v[14:15]
	;; [unrolled: 3-line block ×8, first 2 shown]
	s_wait_loadcnt 0xb
	v_mul_f64_e32 v[145:146], v[86:87], v[90:91]
	s_wait_loadcnt 0xa
	v_mul_f64_e32 v[165:166], v[70:71], v[94:95]
	v_mul_f64_e32 v[94:95], v[68:69], v[94:95]
	;; [unrolled: 1-line block ×3, first 2 shown]
	v_fma_f64 v[36:37], v[36:37], v[0:1], v[137:138]
	v_fma_f64 v[40:41], v[40:41], v[4:5], v[147:148]
	v_fma_f64 v[42:43], v[42:43], v[4:5], -v[149:150]
	scratch_load_b32 v5, off, off offset:8  ; 4-byte Folded Reload
	s_wait_loadcnt 0x8
	v_mul_f64_e32 v[167:168], v[98:99], v[106:107]
	v_mul_f64_e32 v[106:107], v[96:97], v[106:107]
	s_wait_loadcnt 0x7
	v_mul_f64_e32 v[169:170], v[102:103], v[110:111]
	v_mul_f64_e32 v[110:111], v[100:101], v[110:111]
	v_fma_f64 v[38:39], v[38:39], v[0:1], -v[2:3]
	s_wait_loadcnt 0x5
	v_mul_f64_e32 v[171:172], v[114:115], v[118:119]
	v_mul_f64_e32 v[118:119], v[112:113], v[118:119]
	s_wait_loadcnt 0x3
	v_mul_f64_e32 v[173:174], v[122:123], v[126:127]
	v_mul_f64_e32 v[126:127], v[120:121], v[126:127]
	;; [unrolled: 3-line block ×3, first 2 shown]
	v_fma_f64 v[44:45], v[44:45], v[8:9], v[151:152]
	v_fma_f64 v[46:47], v[46:47], v[8:9], -v[10:11]
	v_fma_f64 v[10:11], v[48:49], v[12:13], v[153:154]
	v_fma_f64 v[12:13], v[50:51], v[12:13], -v[155:156]
	;; [unrolled: 2-line block ×8, first 2 shown]
	v_fma_f64 v[6:7], v[84:85], v[88:89], v[145:146]
	v_fma_f64 v[48:49], v[68:69], v[92:93], v[165:166]
	v_fma_f64 v[50:51], v[70:71], v[92:93], -v[94:95]
	v_fma_f64 v[8:9], v[86:87], v[88:89], -v[90:91]
	v_fma_f64 v[52:53], v[96:97], v[104:105], v[167:168]
	v_fma_f64 v[54:55], v[98:99], v[104:105], -v[106:107]
	v_fma_f64 v[56:57], v[100:101], v[108:109], v[169:170]
	;; [unrolled: 2-line block ×5, first 2 shown]
	v_fma_f64 v[70:71], v[134:135], v[128:129], -v[130:131]
	s_wait_loadcnt 0x0
	v_lshl_add_u32 v4, v177, 4, v5
	v_add_nc_u32_e32 v5, v5, v136
	ds_store_b128 v4, v[36:39]
	ds_store_b128 v5, v[40:43] offset:192
	ds_store_b128 v5, v[44:47] offset:384
	;; [unrolled: 1-line block ×16, first 2 shown]
.LBB0_3:
	s_or_b32 exec_lo, exec_lo, s3
	s_clause 0x1
	s_load_b64 s[4:5], s[0:1], 0x20
	s_load_b64 s[2:3], s[0:1], 0x8
	global_wb scope:SCOPE_SE
	s_wait_storecnt_dscnt 0x0
	s_wait_kmcnt 0x0
	s_barrier_signal -1
	s_barrier_wait -1
	global_inv scope:SCOPE_SE
                                        ; implicit-def: $vgpr20_vgpr21
                                        ; implicit-def: $vgpr36_vgpr37
                                        ; implicit-def: $vgpr40_vgpr41
                                        ; implicit-def: $vgpr52_vgpr53
                                        ; implicit-def: $vgpr68_vgpr69
                                        ; implicit-def: $vgpr76_vgpr77
                                        ; implicit-def: $vgpr84_vgpr85
                                        ; implicit-def: $vgpr56_vgpr57
                                        ; implicit-def: $vgpr32_vgpr33
                                        ; implicit-def: $vgpr28_vgpr29
                                        ; implicit-def: $vgpr24_vgpr25
                                        ; implicit-def: $vgpr80_vgpr81
                                        ; implicit-def: $vgpr72_vgpr73
                                        ; implicit-def: $vgpr64_vgpr65
                                        ; implicit-def: $vgpr60_vgpr61
                                        ; implicit-def: $vgpr48_vgpr49
                                        ; implicit-def: $vgpr44_vgpr45
	s_and_saveexec_b32 s0, vcc_lo
	s_cbranch_execz .LBB0_5
; %bb.4:
	scratch_load_b32 v0, off, off offset:4  ; 4-byte Folded Reload
	s_wait_loadcnt 0x0
	v_lshl_add_u32 v0, v0, 4, v136
	ds_load_b128 v[20:23], v0
	ds_load_b128 v[44:47], v0 offset:192
	ds_load_b128 v[48:51], v0 offset:384
	;; [unrolled: 1-line block ×16, first 2 shown]
.LBB0_5:
	s_wait_alu 0xfffe
	s_or_b32 exec_lo, exec_lo, s0
	s_wait_dscnt 0x0
	v_add_f64_e64 v[163:164], v[46:47], -v[26:27]
	v_add_f64_e64 v[102:103], v[50:51], -v[30:31]
	s_mov_b32 s0, 0x5d8e7cdc
	s_mov_b32 s10, 0x2a9d6da3
	;; [unrolled: 1-line block ×4, first 2 shown]
	v_add_f64_e32 v[157:158], v[24:25], v[44:45]
	v_add_f64_e64 v[100:101], v[48:49], -v[28:29]
	s_mov_b32 s6, 0x370991
	s_mov_b32 s7, 0x3fedd6d0
	v_add_f64_e32 v[88:89], v[28:29], v[48:49]
	s_mov_b32 s8, 0x75d4884
	s_mov_b32 s9, 0x3fe7a5f6
	v_add_f64_e64 v[183:184], v[44:45], -v[24:25]
	v_add_f64_e32 v[179:180], v[26:27], v[46:47]
	v_add_f64_e32 v[96:97], v[30:31], v[50:51]
	v_add_f64_e64 v[114:115], v[38:39], -v[34:35]
	s_mov_b32 s18, 0x7c9e640b
	s_mov_b32 s19, 0xbfeca52d
	v_add_f64_e32 v[92:93], v[36:37], v[32:33]
	s_mov_b32 s16, 0x2b2883cd
	s_mov_b32 s22, 0xeb564b22
	;; [unrolled: 1-line block ×4, first 2 shown]
	v_add_f64_e64 v[112:113], v[36:37], -v[32:33]
	v_add_f64_e32 v[108:109], v[38:39], v[34:35]
	s_mov_b32 s54, 0x6c9a05f6
	s_mov_b32 s55, 0xbfe9895b
	v_add_f64_e64 v[124:125], v[42:43], -v[58:59]
	v_add_f64_e32 v[104:105], v[40:41], v[56:57]
	s_mov_b32 s20, 0x3259b75e
	s_mov_b32 s21, 0x3fb79ee6
	v_add_f64_e64 v[126:127], v[40:41], -v[56:57]
	v_add_f64_e32 v[120:121], v[42:43], v[58:59]
	v_add_f64_e64 v[137:138], v[62:63], -v[86:87]
	s_mov_b32 s26, 0x923c349f
	s_mov_b32 s27, 0xbfeec746
	v_add_f64_e32 v[116:117], v[84:85], v[60:61]
	s_wait_alu 0xfffe
	v_mul_f64_e32 v[0:1], s[0:1], v[163:164]
	v_mul_f64_e32 v[2:3], s[10:11], v[102:103]
	;; [unrolled: 1-line block ×4, first 2 shown]
	s_mov_b32 s24, 0xc61f0d01
	s_mov_b32 s25, 0xbfd183b1
	v_add_f64_e64 v[143:144], v[60:61], -v[84:85]
	v_mul_f64_e32 v[4:5], s[10:11], v[100:101]
	v_mul_f64_e32 v[8:9], s[22:23], v[100:101]
	;; [unrolled: 1-line block ×3, first 2 shown]
	v_add_f64_e32 v[132:133], v[86:87], v[62:63]
	v_add_f64_e64 v[169:170], v[66:67], -v[78:79]
	v_add_f64_e32 v[128:129], v[76:77], v[64:65]
	s_mov_b32 s28, 0x6ed5f1bb
	s_mov_b32 s29, 0xbfe348c8
	v_add_f64_e64 v[161:162], v[64:65], -v[76:77]
	v_add_f64_e32 v[145:146], v[78:79], v[66:67]
	v_add_f64_e64 v[173:174], v[54:55], -v[82:83]
	s_mov_b32 s36, 0x4363dd80
	s_mov_b32 s37, 0x3fe0d888
	;; [unrolled: 1-line block ×4, first 2 shown]
	v_add_f64_e32 v[139:140], v[52:53], v[80:81]
	s_mov_b32 s30, 0x910ea3b9
	s_mov_b32 s31, 0xbfeb34fa
	v_add_f64_e64 v[171:172], v[52:53], -v[80:81]
	v_add_f64_e32 v[153:154], v[54:55], v[82:83]
	v_add_f64_e64 v[177:178], v[70:71], -v[74:75]
	s_mov_b32 s38, 0xacd6c6b4
	s_mov_b32 s39, 0xbfc7851a
	v_add_f64_e32 v[149:150], v[68:69], v[72:73]
	s_mov_b32 s34, 0x7faef3
	s_mov_b32 s35, 0xbfef7484
	v_add_f64_e64 v[175:176], v[68:69], -v[72:73]
	v_add_f64_e32 v[165:166], v[70:71], v[74:75]
	v_mul_f64_e32 v[195:196], s[10:11], v[163:164]
	v_mul_f64_e32 v[197:198], s[10:11], v[183:184]
	s_mov_b32 s51, 0x3feec746
	s_mov_b32 s50, s26
	s_clause 0x1
	scratch_store_b64 off, v[2:3], off offset:32
	scratch_store_b64 off, v[0:1], off offset:184
	v_fma_f64 v[0:1], v[157:158], s[6:7], v[0:1]
	v_fma_f64 v[2:3], v[88:89], s[8:9], v[2:3]
	s_mov_b32 s45, 0x3feca52d
	v_mul_f64_e32 v[217:218], s[36:37], v[143:144]
	scratch_store_b64 off, v[4:5], off offset:64 ; 8-byte Folded Spill
	v_fma_f64 v[4:5], v[96:97], s[8:9], -v[4:5]
	s_mov_b32 s44, s18
	s_mov_b32 s43, 0x3fd71e95
	v_mul_f64_e32 v[215:216], s[50:51], v[169:170]
	s_mov_b32 s42, s0
	v_mul_f64_e32 v[199:200], s[18:19], v[163:164]
	v_mul_f64_e32 v[201:202], s[18:19], v[183:184]
	;; [unrolled: 1-line block ×3, first 2 shown]
	s_mov_b32 s47, 0x3fc7851a
	s_mov_b32 s46, s38
	v_mul_f64_e32 v[239:240], s[50:51], v[126:127]
	v_mul_f64_e32 v[223:224], s[46:47], v[112:113]
	s_mov_b32 s49, 0x3fe58eea
	s_mov_b32 s48, s10
	v_mul_f64_e32 v[253:254], s[0:1], v[169:170]
	v_mul_f64_e32 v[235:236], s[48:49], v[137:138]
	;; [unrolled: 1-line block ×19, first 2 shown]
	v_add_f64_e32 v[0:1], v[20:21], v[0:1]
	v_mul_f64_e32 v[147:148], s[40:41], v[169:170]
	v_mul_f64_e32 v[189:190], s[40:41], v[161:162]
	s_mov_b32 s53, 0x3fe9895b
	s_mov_b32 s52, s54
	v_mul_f64_e32 v[249:250], s[48:49], v[177:178]
	v_mul_f64_e32 v[94:95], s[52:53], v[173:174]
	;; [unrolled: 1-line block ×14, first 2 shown]
	s_mov_b32 s57, 0x3fefdd0d
	s_mov_b32 s56, s22
	v_mul_f64_e32 v[141:142], s[0:1], v[173:174]
	v_mul_f64_e32 v[187:188], s[56:57], v[169:170]
	;; [unrolled: 1-line block ×4, first 2 shown]
	scratch_store_b64 off, v[6:7], off offset:216 ; 8-byte Folded Spill
	v_fma_f64 v[6:7], v[88:89], s[20:21], v[6:7]
	v_fma_f64 v[14:15], v[88:89], s[34:35], v[213:214]
	scratch_store_b64 off, v[8:9], off offset:248 ; 8-byte Folded Spill
	v_fma_f64 v[8:9], v[96:97], s[20:21], -v[8:9]
	v_fma_f64 v[16:17], v[96:97], s[34:35], -v[233:234]
	scratch_store_b64 off, v[12:13], off offset:328 ; 8-byte Folded Spill
	v_fma_f64 v[12:13], v[96:97], s[28:29], -v[12:13]
	scratch_store_b64 off, v[10:11], off offset:256 ; 8-byte Folded Spill
	v_fma_f64 v[10:11], v[88:89], s[28:29], v[10:11]
	v_add_f64_e32 v[0:1], v[2:3], v[0:1]
	v_mul_f64_e32 v[2:3], s[0:1], v[183:184]
	v_fma_f64 v[18:19], v[88:89], s[30:31], v[229:230]
	v_fma_f64 v[130:131], v[96:97], s[30:31], -v[90:91]
	scratch_store_b64 off, v[2:3], off offset:200 ; 8-byte Folded Spill
	v_fma_f64 v[2:3], v[179:180], s[6:7], -v[2:3]
	s_delay_alu instid0(VALU_DEP_1) | instskip(NEXT) | instid1(VALU_DEP_1)
	v_add_f64_e32 v[2:3], v[22:23], v[2:3]
	v_add_f64_e32 v[2:3], v[4:5], v[2:3]
	v_mul_f64_e32 v[4:5], s[18:19], v[114:115]
	scratch_store_b64 off, v[4:5], off offset:48 ; 8-byte Folded Spill
	v_fma_f64 v[4:5], v[92:93], s[16:17], v[4:5]
	s_delay_alu instid0(VALU_DEP_1) | instskip(SKIP_3) | instid1(VALU_DEP_1)
	v_add_f64_e32 v[0:1], v[4:5], v[0:1]
	v_mul_f64_e32 v[4:5], s[18:19], v[112:113]
	scratch_store_b64 off, v[4:5], off offset:80 ; 8-byte Folded Spill
	v_fma_f64 v[4:5], v[108:109], s[16:17], -v[4:5]
	v_add_f64_e32 v[2:3], v[4:5], v[2:3]
	v_mul_f64_e32 v[4:5], s[22:23], v[124:125]
	scratch_store_b64 off, v[4:5], off offset:72 ; 8-byte Folded Spill
	v_fma_f64 v[4:5], v[104:105], s[20:21], v[4:5]
	s_delay_alu instid0(VALU_DEP_1) | instskip(SKIP_3) | instid1(VALU_DEP_1)
	v_add_f64_e32 v[0:1], v[4:5], v[0:1]
	v_mul_f64_e32 v[4:5], s[22:23], v[126:127]
	scratch_store_b64 off, v[4:5], off offset:112 ; 8-byte Folded Spill
	v_fma_f64 v[4:5], v[120:121], s[20:21], -v[4:5]
	;; [unrolled: 9-line block ×6, first 2 shown]
	v_add_f64_e32 v[2:3], v[4:5], v[2:3]
	v_fma_f64 v[4:5], v[157:158], s[8:9], v[195:196]
	s_delay_alu instid0(VALU_DEP_1) | instskip(NEXT) | instid1(VALU_DEP_1)
	v_add_f64_e32 v[4:5], v[20:21], v[4:5]
	v_add_f64_e32 v[4:5], v[6:7], v[4:5]
	v_fma_f64 v[6:7], v[179:180], s[8:9], -v[197:198]
	s_delay_alu instid0(VALU_DEP_1) | instskip(NEXT) | instid1(VALU_DEP_1)
	v_add_f64_e32 v[6:7], v[22:23], v[6:7]
	v_add_f64_e32 v[6:7], v[8:9], v[6:7]
	v_mul_f64_e32 v[8:9], s[54:55], v[114:115]
	scratch_store_b64 off, v[8:9], off offset:224 ; 8-byte Folded Spill
	v_fma_f64 v[8:9], v[92:93], s[28:29], v[8:9]
	s_delay_alu instid0(VALU_DEP_1) | instskip(SKIP_3) | instid1(VALU_DEP_1)
	v_add_f64_e32 v[4:5], v[8:9], v[4:5]
	v_mul_f64_e32 v[8:9], s[54:55], v[112:113]
	scratch_store_b64 off, v[8:9], off offset:264 ; 8-byte Folded Spill
	v_fma_f64 v[8:9], v[108:109], s[28:29], -v[8:9]
	v_add_f64_e32 v[6:7], v[8:9], v[6:7]
	v_mul_f64_e32 v[8:9], s[38:39], v[124:125]
	scratch_store_b64 off, v[8:9], off offset:232 ; 8-byte Folded Spill
	v_fma_f64 v[8:9], v[104:105], s[34:35], v[8:9]
	s_delay_alu instid0(VALU_DEP_1) | instskip(SKIP_3) | instid1(VALU_DEP_1)
	v_add_f64_e32 v[4:5], v[8:9], v[4:5]
	v_mul_f64_e32 v[8:9], s[38:39], v[126:127]
	scratch_store_b64 off, v[8:9], off offset:304 ; 8-byte Folded Spill
	v_fma_f64 v[8:9], v[120:121], s[34:35], -v[8:9]
	v_add_f64_e32 v[6:7], v[8:9], v[6:7]
	v_mul_f64_e32 v[8:9], s[36:37], v[137:138]
	scratch_store_b64 off, v[8:9], off offset:272 ; 8-byte Folded Spill
	v_fma_f64 v[8:9], v[116:117], s[30:31], v[8:9]
	s_delay_alu instid0(VALU_DEP_1) | instskip(SKIP_1) | instid1(VALU_DEP_1)
	v_add_f64_e32 v[4:5], v[8:9], v[4:5]
	v_fma_f64 v[8:9], v[132:133], s[30:31], -v[217:218]
	v_add_f64_e32 v[6:7], v[8:9], v[6:7]
	v_fma_f64 v[8:9], v[128:129], s[24:25], v[215:216]
	s_delay_alu instid0(VALU_DEP_1) | instskip(SKIP_1) | instid1(VALU_DEP_1)
	v_add_f64_e32 v[4:5], v[8:9], v[4:5]
	v_fma_f64 v[8:9], v[145:146], s[24:25], -v[237:238]
	v_add_f64_e32 v[6:7], v[8:9], v[6:7]
	v_mul_f64_e32 v[8:9], s[44:45], v[173:174]
	scratch_store_b64 off, v[8:9], off offset:280 ; 8-byte Folded Spill
	v_fma_f64 v[8:9], v[139:140], s[16:17], v[8:9]
	s_delay_alu instid0(VALU_DEP_1) | instskip(SKIP_3) | instid1(VALU_DEP_1)
	v_add_f64_e32 v[4:5], v[8:9], v[4:5]
	v_mul_f64_e32 v[8:9], s[44:45], v[171:172]
	scratch_store_b64 off, v[8:9], off offset:320 ; 8-byte Folded Spill
	v_fma_f64 v[8:9], v[153:154], s[16:17], -v[8:9]
	v_add_f64_e32 v[6:7], v[8:9], v[6:7]
	v_mul_f64_e32 v[8:9], s[42:43], v[177:178]
	scratch_store_b64 off, v[8:9], off offset:288 ; 8-byte Folded Spill
	v_fma_f64 v[8:9], v[149:150], s[6:7], v[8:9]
	s_delay_alu instid0(VALU_DEP_1) | instskip(SKIP_1) | instid1(VALU_DEP_1)
	v_add_f64_e32 v[4:5], v[8:9], v[4:5]
	v_fma_f64 v[8:9], v[165:166], s[6:7], -v[219:220]
	v_add_f64_e32 v[6:7], v[8:9], v[6:7]
	v_fma_f64 v[8:9], v[157:158], s[16:17], v[199:200]
	s_delay_alu instid0(VALU_DEP_1) | instskip(NEXT) | instid1(VALU_DEP_1)
	v_add_f64_e32 v[8:9], v[20:21], v[8:9]
	v_add_f64_e32 v[8:9], v[10:11], v[8:9]
	v_fma_f64 v[10:11], v[179:180], s[16:17], -v[201:202]
	s_delay_alu instid0(VALU_DEP_1) | instskip(NEXT) | instid1(VALU_DEP_1)
	v_add_f64_e32 v[10:11], v[22:23], v[10:11]
	v_add_f64_e32 v[10:11], v[12:13], v[10:11]
	v_mul_f64_e32 v[12:13], s[46:47], v[114:115]
	scratch_store_b64 off, v[12:13], off offset:296 ; 8-byte Folded Spill
	v_fma_f64 v[12:13], v[92:93], s[34:35], v[12:13]
	s_delay_alu instid0(VALU_DEP_1) | instskip(SKIP_1) | instid1(VALU_DEP_1)
	v_add_f64_e32 v[8:9], v[12:13], v[8:9]
	v_fma_f64 v[12:13], v[108:109], s[34:35], -v[223:224]
	v_add_f64_e32 v[10:11], v[12:13], v[10:11]
	v_mul_f64_e32 v[12:13], s[50:51], v[124:125]
	scratch_store_b64 off, v[12:13], off offset:312 ; 8-byte Folded Spill
	v_fma_f64 v[12:13], v[104:105], s[24:25], v[12:13]
	global_wb scope:SCOPE_SE
	s_wait_storecnt 0x0
	s_barrier_signal -1
	s_barrier_wait -1
	global_inv scope:SCOPE_SE
	v_add_f64_e32 v[8:9], v[12:13], v[8:9]
	v_fma_f64 v[12:13], v[120:121], s[24:25], -v[239:240]
	s_delay_alu instid0(VALU_DEP_1) | instskip(SKIP_1) | instid1(VALU_DEP_1)
	v_add_f64_e32 v[10:11], v[12:13], v[10:11]
	v_fma_f64 v[12:13], v[116:117], s[8:9], v[235:236]
	v_add_f64_e32 v[8:9], v[12:13], v[8:9]
	v_fma_f64 v[12:13], v[132:133], s[8:9], -v[106:107]
	s_delay_alu instid0(VALU_DEP_1) | instskip(SKIP_1) | instid1(VALU_DEP_1)
	v_add_f64_e32 v[10:11], v[12:13], v[10:11]
	v_fma_f64 v[12:13], v[128:129], s[6:7], v[253:254]
	;; [unrolled: 5-line block ×5, first 2 shown]
	v_add_f64_e32 v[12:13], v[20:21], v[12:13]
	s_delay_alu instid0(VALU_DEP_1) | instskip(SKIP_1) | instid1(VALU_DEP_1)
	v_add_f64_e32 v[12:13], v[14:15], v[12:13]
	v_fma_f64 v[14:15], v[179:180], s[20:21], -v[205:206]
	v_add_f64_e32 v[14:15], v[22:23], v[14:15]
	s_delay_alu instid0(VALU_DEP_1) | instskip(SKIP_1) | instid1(VALU_DEP_1)
	v_add_f64_e32 v[14:15], v[16:17], v[14:15]
	v_fma_f64 v[16:17], v[92:93], s[24:25], v[225:226]
	v_add_f64_e32 v[12:13], v[16:17], v[12:13]
	v_fma_f64 v[16:17], v[108:109], s[24:25], -v[251:252]
	s_delay_alu instid0(VALU_DEP_1) | instskip(SKIP_1) | instid1(VALU_DEP_1)
	v_add_f64_e32 v[14:15], v[16:17], v[14:15]
	v_fma_f64 v[16:17], v[104:105], s[6:7], v[231:232]
	v_add_f64_e32 v[12:13], v[16:17], v[12:13]
	v_fma_f64 v[16:17], v[120:121], s[6:7], -v[118:119]
	;; [unrolled: 5-line block ×6, first 2 shown]
	s_delay_alu instid0(VALU_DEP_1) | instskip(SKIP_1) | instid1(VALU_DEP_1)
	v_add_f64_e32 v[14:15], v[16:17], v[14:15]
	v_fma_f64 v[16:17], v[157:158], s[24:25], v[207:208]
	v_add_f64_e32 v[16:17], v[20:21], v[16:17]
	s_delay_alu instid0(VALU_DEP_1) | instskip(SKIP_1) | instid1(VALU_DEP_1)
	v_add_f64_e32 v[16:17], v[18:19], v[16:17]
	v_fma_f64 v[18:19], v[179:180], s[24:25], -v[209:210]
	v_add_f64_e32 v[18:19], v[22:23], v[18:19]
	s_delay_alu instid0(VALU_DEP_1) | instskip(SKIP_1) | instid1(VALU_DEP_1)
	v_add_f64_e32 v[18:19], v[130:131], v[18:19]
	v_fma_f64 v[130:131], v[92:93], s[8:9], v[245:246]
	v_add_f64_e32 v[16:17], v[130:131], v[16:17]
	v_fma_f64 v[130:131], v[108:109], s[8:9], -v[134:135]
	s_delay_alu instid0(VALU_DEP_1) | instskip(SKIP_1) | instid1(VALU_DEP_1)
	v_add_f64_e32 v[18:19], v[130:131], v[18:19]
	v_fma_f64 v[130:131], v[104:105], s[16:17], v[247:248]
	v_add_f64_e32 v[16:17], v[130:131], v[16:17]
	v_fma_f64 v[130:131], v[120:121], s[16:17], -v[181:182]
	;; [unrolled: 5-line block ×5, first 2 shown]
	s_delay_alu instid0(VALU_DEP_1) | instskip(SKIP_1) | instid1(VALU_DEP_1)
	v_add_f64_e32 v[18:19], v[130:131], v[18:19]
	v_mul_f64_e32 v[130:131], s[54:55], v[177:178]
	v_fma_f64 v[167:168], v[149:150], s[28:29], v[130:131]
	s_delay_alu instid0(VALU_DEP_1) | instskip(SKIP_1) | instid1(VALU_DEP_1)
	v_add_f64_e32 v[16:17], v[167:168], v[16:17]
	v_mul_f64_e32 v[167:168], s[54:55], v[175:176]
	v_fma_f64 v[211:212], v[165:166], s[28:29], -v[167:168]
	s_delay_alu instid0(VALU_DEP_1)
	v_add_f64_e32 v[18:19], v[211:212], v[18:19]
	s_and_saveexec_b32 s33, vcc_lo
	s_cbranch_execz .LBB0_7
; %bb.6:
	v_add_f64_e32 v[46:47], v[22:23], v[46:47]
	v_add_f64_e32 v[44:45], v[20:21], v[44:45]
	scratch_load_b64 v[211:212], off, off offset:216 th:TH_LOAD_LU ; 8-byte Folded Reload
	v_add_f64_e32 v[46:47], v[50:51], v[46:47]
	v_add_f64_e32 v[44:45], v[48:49], v[44:45]
	v_mul_f64_e32 v[48:49], s[16:17], v[179:180]
	v_mul_f64_e32 v[50:51], s[16:17], v[157:158]
	s_delay_alu instid0(VALU_DEP_4) | instskip(NEXT) | instid1(VALU_DEP_4)
	v_add_f64_e32 v[38:39], v[38:39], v[46:47]
	v_add_f64_e32 v[36:37], v[36:37], v[44:45]
	v_mul_f64_e32 v[44:45], s[20:21], v[179:180]
	v_mul_f64_e32 v[46:47], s[20:21], v[157:158]
	v_add_f64_e32 v[48:49], v[201:202], v[48:49]
	v_add_f64_e64 v[50:51], v[50:51], -v[199:200]
	v_mul_f64_e32 v[199:200], s[24:25], v[165:166]
	v_mul_f64_e32 v[201:202], s[26:27], v[177:178]
	v_add_f64_e32 v[38:39], v[42:43], v[38:39]
	v_add_f64_e32 v[36:37], v[40:41], v[36:37]
	;; [unrolled: 1-line block ×3, first 2 shown]
	scratch_load_b64 v[205:206], off, off offset:248 th:TH_LOAD_LU ; 8-byte Folded Reload
	v_mul_f64_e32 v[40:41], s[24:25], v[179:180]
	v_mul_f64_e32 v[42:43], s[24:25], v[157:158]
	v_add_f64_e64 v[46:47], v[46:47], -v[203:204]
	scratch_load_b64 v[203:204], off, off offset:264 th:TH_LOAD_LU ; 8-byte Folded Reload
	v_add_f64_e32 v[38:39], v[62:63], v[38:39]
	v_add_f64_e32 v[36:37], v[60:61], v[36:37]
	v_mul_f64_e32 v[60:61], s[40:41], v[163:164]
	v_mul_f64_e32 v[62:63], s[54:55], v[163:164]
	v_add_f64_e32 v[40:41], v[209:210], v[40:41]
	scratch_load_b64 v[209:210], off, off offset:272 th:TH_LOAD_LU ; 8-byte Folded Reload
	v_add_f64_e64 v[42:43], v[42:43], -v[207:208]
	v_add_f64_e32 v[46:47], v[20:21], v[46:47]
	v_add_f64_e32 v[44:45], v[22:23], v[44:45]
	v_mul_f64_e32 v[207:208], s[30:31], v[116:117]
	v_add_f64_e32 v[38:39], v[66:67], v[38:39]
	v_add_f64_e32 v[36:37], v[64:65], v[36:37]
	v_fma_f64 v[66:67], v[157:158], s[30:31], v[60:61]
	v_fma_f64 v[60:61], v[157:158], s[30:31], -v[60:61]
	s_delay_alu instid0(VALU_DEP_4) | instskip(NEXT) | instid1(VALU_DEP_4)
	v_add_f64_e32 v[38:39], v[54:55], v[38:39]
	v_add_f64_e32 v[36:37], v[52:53], v[36:37]
	v_mul_f64_e32 v[54:55], s[8:9], v[157:158]
	v_mul_f64_e32 v[52:53], s[8:9], v[179:180]
	v_add_f64_e32 v[66:67], v[20:21], v[66:67]
	v_add_f64_e32 v[60:61], v[20:21], v[60:61]
	;; [unrolled: 1-line block ×4, first 2 shown]
	v_mul_f64_e32 v[70:71], s[6:7], v[157:158]
	v_add_f64_e64 v[54:55], v[54:55], -v[195:196]
	v_fma_f64 v[68:69], v[157:158], s[28:29], v[62:63]
	v_fma_f64 v[62:63], v[157:158], s[28:29], -v[62:63]
	v_add_f64_e32 v[52:53], v[197:198], v[52:53]
	v_mul_f64_e32 v[195:196], s[56:57], v[177:178]
	v_mul_f64_e32 v[197:198], s[48:49], v[173:174]
	v_add_f64_e32 v[38:39], v[74:75], v[38:39]
	v_add_f64_e32 v[36:37], v[72:73], v[36:37]
	scratch_load_b64 v[72:73], off, off offset:184 th:TH_LOAD_LU ; 8-byte Folded Reload
	v_add_f64_e32 v[68:69], v[20:21], v[68:69]
	v_add_f64_e32 v[62:63], v[20:21], v[62:63]
	;; [unrolled: 1-line block ×6, first 2 shown]
	s_delay_alu instid0(VALU_DEP_4) | instskip(NEXT) | instid1(VALU_DEP_4)
	v_add_f64_e32 v[38:39], v[78:79], v[38:39]
	v_add_f64_e32 v[36:37], v[76:77], v[36:37]
	;; [unrolled: 1-line block ×4, first 2 shown]
	v_mul_f64_e32 v[48:49], s[30:31], v[108:109]
	v_add_f64_e32 v[38:39], v[86:87], v[38:39]
	v_add_f64_e32 v[36:37], v[84:85], v[36:37]
	s_delay_alu instid0(VALU_DEP_3) | instskip(NEXT) | instid1(VALU_DEP_3)
	v_fma_f64 v[50:51], v[112:113], s[36:37], v[48:49]
	v_add_f64_e32 v[38:39], v[58:59], v[38:39]
	scratch_load_b64 v[58:59], off, off offset:200 th:TH_LOAD_LU ; 8-byte Folded Reload
	v_add_f64_e32 v[36:37], v[56:57], v[36:37]
	v_mul_f64_e32 v[56:57], s[6:7], v[179:180]
	s_wait_loadcnt 0x2
	v_add_f64_e64 v[207:208], v[207:208], -v[209:210]
	v_mul_f64_e32 v[209:210], s[20:21], v[88:89]
	v_add_f64_e32 v[34:35], v[34:35], v[38:39]
	v_add_f64_e32 v[32:33], v[32:33], v[36:37]
	v_mul_f64_e32 v[36:37], s[28:29], v[179:180]
	s_delay_alu instid0(VALU_DEP_4)
	v_add_f64_e64 v[209:210], v[209:210], -v[211:212]
	v_mul_f64_e32 v[211:212], s[28:29], v[92:93]
	v_add_f64_e32 v[30:31], v[30:31], v[34:35]
	v_add_f64_e32 v[28:29], v[28:29], v[32:33]
	v_mul_f64_e32 v[32:33], s[30:31], v[179:180]
	v_fma_f64 v[38:39], v[183:184], s[52:53], v[36:37]
	v_fma_f64 v[36:37], v[183:184], s[54:55], v[36:37]
	v_add_f64_e32 v[26:27], v[26:27], v[30:31]
	v_add_f64_e32 v[24:25], v[24:25], v[28:29]
	v_mul_f64_e32 v[28:29], s[34:35], v[179:180]
	v_fma_f64 v[34:35], v[183:184], s[36:37], v[32:33]
	v_fma_f64 v[32:33], v[183:184], s[40:41], v[32:33]
	v_add_f64_e32 v[74:75], v[22:23], v[38:39]
	v_add_f64_e32 v[38:39], v[20:21], v[54:55]
	;; [unrolled: 1-line block ×4, first 2 shown]
	v_fma_f64 v[30:31], v[183:184], s[46:47], v[28:29]
	v_fma_f64 v[28:29], v[183:184], s[38:39], v[28:29]
	v_add_f64_e32 v[34:35], v[22:23], v[34:35]
	v_mul_f64_e32 v[183:184], s[20:21], v[165:166]
	v_add_f64_e32 v[38:39], v[209:210], v[38:39]
	scratch_load_b64 v[209:210], off, off offset:232 th:TH_LOAD_LU ; 8-byte Folded Reload
	s_wait_loadcnt 0x2
	v_add_f64_e64 v[70:71], v[70:71], -v[72:73]
	v_add_f64_e32 v[72:73], v[22:23], v[32:33]
	v_mul_f64_e32 v[32:33], s[6:7], v[96:97]
	v_add_f64_e32 v[30:31], v[22:23], v[30:31]
	v_add_f64_e32 v[28:29], v[22:23], v[28:29]
	;; [unrolled: 1-line block ×3, first 2 shown]
	s_wait_loadcnt 0x1
	v_add_f64_e32 v[56:57], v[58:59], v[56:57]
	v_mul_f64_e32 v[58:59], s[38:39], v[163:164]
	s_delay_alu instid0(VALU_DEP_2) | instskip(NEXT) | instid1(VALU_DEP_2)
	v_add_f64_e32 v[82:83], v[22:23], v[56:57]
	v_fma_f64 v[64:65], v[157:158], s[34:35], v[58:59]
	v_fma_f64 v[58:59], v[157:158], s[34:35], -v[58:59]
	s_delay_alu instid0(VALU_DEP_2) | instskip(NEXT) | instid1(VALU_DEP_2)
	v_add_f64_e32 v[64:65], v[20:21], v[64:65]
	v_add_f64_e32 v[58:59], v[20:21], v[58:59]
	v_fma_f64 v[20:21], v[100:101], s[0:1], v[32:33]
	v_fma_f64 v[32:33], v[100:101], s[42:43], v[32:33]
	s_delay_alu instid0(VALU_DEP_2) | instskip(SKIP_1) | instid1(VALU_DEP_3)
	v_add_f64_e32 v[20:21], v[20:21], v[30:31]
	v_mul_f64_e32 v[30:31], s[42:43], v[102:103]
	v_add_f64_e32 v[28:29], v[32:33], v[28:29]
	v_fma_f64 v[32:33], v[112:113], s[40:41], v[48:49]
	v_fma_f64 v[48:49], v[149:150], s[20:21], -v[195:196]
	v_add_f64_e32 v[20:21], v[50:51], v[20:21]
	v_fma_f64 v[22:23], v[88:89], s[6:7], v[30:31]
	v_mul_f64_e32 v[50:51], s[40:41], v[114:115]
	v_fma_f64 v[30:31], v[88:89], s[6:7], -v[30:31]
	v_add_f64_e32 v[28:29], v[32:33], v[28:29]
	s_delay_alu instid0(VALU_DEP_4) | instskip(NEXT) | instid1(VALU_DEP_4)
	v_add_f64_e32 v[22:23], v[22:23], v[64:65]
	v_fma_f64 v[52:53], v[92:93], s[30:31], v[50:51]
	s_delay_alu instid0(VALU_DEP_4)
	v_add_f64_e32 v[30:31], v[30:31], v[58:59]
	v_fma_f64 v[32:33], v[92:93], s[30:31], -v[50:51]
	v_mul_f64_e32 v[58:59], s[44:45], v[102:103]
	v_mul_f64_e32 v[50:51], s[30:31], v[132:133]
	v_add_f64_e32 v[22:23], v[52:53], v[22:23]
	v_mul_f64_e32 v[52:53], s[8:9], v[120:121]
	v_add_f64_e32 v[30:31], v[32:33], v[30:31]
	s_delay_alu instid0(VALU_DEP_4) | instskip(NEXT) | instid1(VALU_DEP_3)
	v_add_f64_e32 v[50:51], v[217:218], v[50:51]
	v_fma_f64 v[54:55], v[126:127], s[10:11], v[52:53]
	v_fma_f64 v[32:33], v[126:127], s[48:49], v[52:53]
	v_mul_f64_e32 v[52:53], s[34:35], v[120:121]
	s_delay_alu instid0(VALU_DEP_3) | instskip(SKIP_1) | instid1(VALU_DEP_4)
	v_add_f64_e32 v[20:21], v[54:55], v[20:21]
	v_mul_f64_e32 v[54:55], s[48:49], v[124:125]
	v_add_f64_e32 v[28:29], v[32:33], v[28:29]
	s_delay_alu instid0(VALU_DEP_2)
	v_fma_f64 v[56:57], v[104:105], s[8:9], v[54:55]
	v_fma_f64 v[32:33], v[104:105], s[8:9], -v[54:55]
	scratch_load_b64 v[54:55], off, off offset:304 th:TH_LOAD_LU ; 8-byte Folded Reload
	v_add_f64_e32 v[22:23], v[56:57], v[22:23]
	v_mul_f64_e32 v[56:57], s[28:29], v[132:133]
	v_add_f64_e32 v[30:31], v[32:33], v[30:31]
	s_delay_alu instid0(VALU_DEP_2) | instskip(SKIP_2) | instid1(VALU_DEP_3)
	v_fma_f64 v[64:65], v[143:144], s[52:53], v[56:57]
	v_fma_f64 v[32:33], v[143:144], s[54:55], v[56:57]
	v_mul_f64_e32 v[56:57], s[16:17], v[96:97]
	v_add_f64_e32 v[20:21], v[64:65], v[20:21]
	v_mul_f64_e32 v[64:65], s[54:55], v[137:138]
	s_delay_alu instid0(VALU_DEP_4) | instskip(NEXT) | instid1(VALU_DEP_2)
	v_add_f64_e32 v[28:29], v[32:33], v[28:29]
	v_fma_f64 v[84:85], v[116:117], s[28:29], v[64:65]
	v_fma_f64 v[32:33], v[116:117], s[28:29], -v[64:65]
	v_mul_f64_e32 v[64:65], s[20:21], v[108:109]
	s_delay_alu instid0(VALU_DEP_3) | instskip(SKIP_1) | instid1(VALU_DEP_4)
	v_add_f64_e32 v[22:23], v[84:85], v[22:23]
	v_mul_f64_e32 v[84:85], s[16:17], v[145:146]
	v_add_f64_e32 v[30:31], v[32:33], v[30:31]
	s_delay_alu instid0(VALU_DEP_2) | instskip(SKIP_2) | instid1(VALU_DEP_3)
	v_fma_f64 v[86:87], v[161:162], s[18:19], v[84:85]
	v_fma_f64 v[32:33], v[161:162], s[44:45], v[84:85]
	v_mul_f64_e32 v[84:85], s[28:29], v[120:121]
	v_add_f64_e32 v[20:21], v[86:87], v[20:21]
	v_mul_f64_e32 v[86:87], s[44:45], v[169:170]
	s_delay_alu instid0(VALU_DEP_4) | instskip(NEXT) | instid1(VALU_DEP_2)
	v_add_f64_e32 v[28:29], v[32:33], v[28:29]
	v_fma_f64 v[157:158], v[128:129], s[16:17], v[86:87]
	v_fma_f64 v[32:33], v[128:129], s[16:17], -v[86:87]
	v_mul_f64_e32 v[86:87], s[52:53], v[124:125]
	s_wait_loadcnt 0x0
	v_add_f64_e32 v[52:53], v[54:55], v[52:53]
	v_mul_f64_e32 v[54:55], s[28:29], v[108:109]
	v_add_f64_e32 v[22:23], v[157:158], v[22:23]
	v_mul_f64_e32 v[157:158], s[24:25], v[153:154]
	v_add_f64_e32 v[30:31], v[32:33], v[30:31]
	s_delay_alu instid0(VALU_DEP_4) | instskip(SKIP_1) | instid1(VALU_DEP_4)
	v_add_f64_e32 v[54:55], v[203:204], v[54:55]
	v_mul_f64_e32 v[203:204], s[20:21], v[96:97]
	v_fma_f64 v[163:164], v[171:172], s[50:51], v[157:158]
	v_fma_f64 v[32:33], v[171:172], s[26:27], v[157:158]
	v_mul_f64_e32 v[157:158], s[6:7], v[132:133]
	s_delay_alu instid0(VALU_DEP_4)
	v_add_f64_e32 v[203:204], v[205:206], v[203:204]
	v_mul_f64_e32 v[205:206], s[24:25], v[128:129]
	v_add_f64_e32 v[20:21], v[163:164], v[20:21]
	v_mul_f64_e32 v[163:164], s[26:27], v[173:174]
	v_add_f64_e32 v[28:29], v[32:33], v[28:29]
	v_add_f64_e32 v[36:37], v[203:204], v[36:37]
	v_add_f64_e64 v[205:206], v[205:206], -v[215:216]
	scratch_load_b64 v[215:216], off, off offset:224 th:TH_LOAD_LU ; 8-byte Folded Reload
	v_mul_f64_e32 v[203:204], s[34:35], v[104:105]
	v_fma_f64 v[32:33], v[139:140], s[24:25], -v[163:164]
	v_fma_f64 v[179:180], v[139:140], s[24:25], v[163:164]
	v_mul_f64_e32 v[163:164], s[0:1], v[137:138]
	v_add_f64_e32 v[36:37], v[54:55], v[36:37]
	v_mul_f64_e32 v[54:55], s[16:17], v[153:154]
	v_add_f64_e64 v[203:204], v[203:204], -v[209:210]
	scratch_load_b64 v[209:210], off, off offset:320 th:TH_LOAD_LU ; 8-byte Folded Reload
	v_add_f64_e32 v[32:33], v[32:33], v[30:31]
	v_fma_f64 v[30:31], v[175:176], s[56:57], v[183:184]
	v_add_f64_e32 v[179:180], v[179:180], v[22:23]
	v_fma_f64 v[22:23], v[175:176], s[22:23], v[183:184]
	v_mul_f64_e32 v[183:184], s[38:39], v[169:170]
	v_add_f64_e32 v[36:37], v[52:53], v[36:37]
	v_mul_f64_e32 v[52:53], s[16:17], v[139:140]
	v_add_f64_e32 v[30:31], v[30:31], v[28:29]
	v_add_f64_e32 v[28:29], v[48:49], v[32:33]
	v_fma_f64 v[32:33], v[100:101], s[18:19], v[56:57]
	v_fma_f64 v[48:49], v[112:113], s[56:57], v[64:65]
	v_add_f64_e32 v[22:23], v[22:23], v[20:21]
	v_fma_f64 v[20:21], v[149:150], s[20:21], v[195:196]
	v_mul_f64_e32 v[195:196], s[8:9], v[153:154]
	v_fma_f64 v[56:57], v[100:101], s[44:45], v[56:57]
	v_add_f64_e32 v[36:37], v[50:51], v[36:37]
	v_mul_f64_e32 v[50:51], s[6:7], v[165:166]
	v_add_f64_e32 v[32:33], v[32:33], v[34:35]
	v_fma_f64 v[34:35], v[88:89], s[16:17], v[58:59]
	v_fma_f64 v[58:59], v[88:89], s[16:17], -v[58:59]
	v_add_f64_e32 v[20:21], v[20:21], v[179:180]
	v_mul_f64_e32 v[179:180], s[34:35], v[145:146]
	v_add_f64_e32 v[56:57], v[56:57], v[72:73]
	v_add_f64_e32 v[50:51], v[219:220], v[50:51]
	;; [unrolled: 1-line block ×4, first 2 shown]
	v_mul_f64_e32 v[66:67], s[22:23], v[114:115]
	v_add_f64_e32 v[58:59], v[58:59], v[60:61]
	v_fma_f64 v[60:61], v[112:113], s[22:23], v[64:65]
	v_fma_f64 v[64:65], v[149:150], s[24:25], -v[201:202]
	s_delay_alu instid0(VALU_DEP_4) | instskip(NEXT) | instid1(VALU_DEP_3)
	v_fma_f64 v[48:49], v[92:93], s[20:21], v[66:67]
	v_add_f64_e32 v[56:57], v[60:61], v[56:57]
	v_fma_f64 v[60:61], v[92:93], s[20:21], -v[66:67]
	s_delay_alu instid0(VALU_DEP_3) | instskip(SKIP_1) | instid1(VALU_DEP_3)
	v_add_f64_e32 v[34:35], v[48:49], v[34:35]
	v_fma_f64 v[48:49], v[126:127], s[54:55], v[84:85]
	v_add_f64_e32 v[58:59], v[60:61], v[58:59]
	v_fma_f64 v[60:61], v[126:127], s[52:53], v[84:85]
	s_delay_alu instid0(VALU_DEP_3) | instskip(SKIP_1) | instid1(VALU_DEP_3)
	v_add_f64_e32 v[32:33], v[48:49], v[32:33]
	v_fma_f64 v[48:49], v[104:105], s[28:29], v[86:87]
	v_add_f64_e32 v[56:57], v[60:61], v[56:57]
	v_fma_f64 v[60:61], v[104:105], s[28:29], -v[86:87]
	scratch_load_b64 v[86:87], off, off offset:48 th:TH_LOAD_LU ; 8-byte Folded Reload
	s_wait_loadcnt 0x2
	v_add_f64_e64 v[211:212], v[211:212], -v[215:216]
	v_add_f64_e32 v[34:35], v[48:49], v[34:35]
	v_fma_f64 v[48:49], v[143:144], s[42:43], v[157:158]
	v_add_f64_e32 v[58:59], v[60:61], v[58:59]
	v_fma_f64 v[60:61], v[143:144], s[0:1], v[157:158]
	v_add_f64_e32 v[38:39], v[211:212], v[38:39]
	s_wait_loadcnt 0x1
	v_add_f64_e32 v[54:55], v[209:210], v[54:55]
	scratch_load_b64 v[209:210], off, off offset:296 th:TH_LOAD_LU ; 8-byte Folded Reload
	v_add_f64_e32 v[32:33], v[48:49], v[32:33]
	v_fma_f64 v[48:49], v[116:117], s[6:7], v[163:164]
	v_add_f64_e32 v[56:57], v[60:61], v[56:57]
	v_fma_f64 v[60:61], v[116:117], s[6:7], -v[163:164]
	v_add_f64_e32 v[38:39], v[203:204], v[38:39]
	scratch_load_b64 v[203:204], off, off offset:280 th:TH_LOAD_LU ; 8-byte Folded Reload
	v_add_f64_e32 v[34:35], v[48:49], v[34:35]
	v_fma_f64 v[48:49], v[161:162], s[46:47], v[179:180]
	v_add_f64_e32 v[58:59], v[60:61], v[58:59]
	v_fma_f64 v[60:61], v[161:162], s[38:39], v[179:180]
	v_add_f64_e32 v[38:39], v[207:208], v[38:39]
	scratch_load_b64 v[207:208], off, off offset:256 th:TH_LOAD_LU ; 8-byte Folded Reload
	v_add_f64_e32 v[32:33], v[48:49], v[32:33]
	v_fma_f64 v[48:49], v[128:129], s[34:35], v[183:184]
	v_add_f64_e32 v[56:57], v[60:61], v[56:57]
	v_fma_f64 v[60:61], v[128:129], s[34:35], -v[183:184]
	v_add_f64_e32 v[38:39], v[205:206], v[38:39]
	v_mul_f64_e32 v[205:206], s[28:29], v[88:89]
	v_add_f64_e32 v[34:35], v[48:49], v[34:35]
	v_fma_f64 v[48:49], v[171:172], s[10:11], v[195:196]
	v_add_f64_e32 v[58:59], v[60:61], v[58:59]
	v_fma_f64 v[60:61], v[171:172], s[48:49], v[195:196]
	s_delay_alu instid0(VALU_DEP_3) | instskip(SKIP_1) | instid1(VALU_DEP_3)
	v_add_f64_e32 v[32:33], v[48:49], v[32:33]
	v_fma_f64 v[48:49], v[139:140], s[8:9], v[197:198]
	v_add_f64_e32 v[56:57], v[60:61], v[56:57]
	v_fma_f64 v[60:61], v[139:140], s[8:9], -v[197:198]
	s_delay_alu instid0(VALU_DEP_3) | instskip(SKIP_1) | instid1(VALU_DEP_3)
	v_add_f64_e32 v[48:49], v[48:49], v[34:35]
	v_fma_f64 v[34:35], v[175:176], s[50:51], v[199:200]
	v_add_f64_e32 v[60:61], v[60:61], v[58:59]
	v_fma_f64 v[58:59], v[175:176], s[26:27], v[199:200]
	s_delay_alu instid0(VALU_DEP_3) | instskip(SKIP_1) | instid1(VALU_DEP_3)
	v_add_f64_e32 v[34:35], v[34:35], v[32:33]
	v_fma_f64 v[32:33], v[149:150], s[24:25], v[201:202]
	v_add_f64_e32 v[58:59], v[58:59], v[56:57]
	v_add_f64_e32 v[56:57], v[64:65], v[60:61]
	s_delay_alu instid0(VALU_DEP_3) | instskip(SKIP_1) | instid1(VALU_DEP_1)
	v_add_f64_e32 v[32:33], v[32:33], v[48:49]
	v_mul_f64_e32 v[48:49], s[24:25], v[145:146]
	v_add_f64_e32 v[48:49], v[237:238], v[48:49]
	s_wait_loadcnt 0x1
	v_add_f64_e64 v[52:53], v[52:53], -v[203:204]
	scratch_load_b64 v[203:204], off, off offset:288 th:TH_LOAD_LU ; 8-byte Folded Reload
	v_add_f64_e32 v[36:37], v[48:49], v[36:37]
	v_mul_f64_e32 v[48:49], s[6:7], v[149:150]
	s_wait_loadcnt 0x1
	v_add_f64_e64 v[205:206], v[205:206], -v[207:208]
	v_add_f64_e32 v[52:53], v[52:53], v[38:39]
	v_mul_f64_e32 v[207:208], s[34:35], v[92:93]
	v_add_f64_e32 v[36:37], v[54:55], v[36:37]
	v_mul_f64_e32 v[54:55], s[34:35], v[108:109]
	v_add_f64_e32 v[42:43], v[205:206], v[42:43]
	scratch_load_b64 v[205:206], off, off offset:312 th:TH_LOAD_LU ; 8-byte Folded Reload
	v_add_f64_e64 v[207:208], v[207:208], -v[209:210]
	v_add_f64_e32 v[38:39], v[50:51], v[36:37]
	v_mul_f64_e32 v[50:51], s[8:9], v[132:133]
	v_add_f64_e32 v[54:55], v[223:224], v[54:55]
	s_delay_alu instid0(VALU_DEP_4) | instskip(NEXT) | instid1(VALU_DEP_3)
	v_add_f64_e32 v[42:43], v[207:208], v[42:43]
	v_add_f64_e32 v[50:51], v[106:107], v[50:51]
	v_mul_f64_e32 v[106:107], s[28:29], v[96:97]
	s_wait_loadcnt 0x1
	v_add_f64_e64 v[48:49], v[48:49], -v[203:204]
	v_mul_f64_e32 v[203:204], s[8:9], v[116:117]
	s_delay_alu instid0(VALU_DEP_2) | instskip(SKIP_2) | instid1(VALU_DEP_4)
	v_add_f64_e32 v[36:37], v[48:49], v[52:53]
	v_mul_f64_e32 v[48:49], s[6:7], v[145:146]
	v_mul_f64_e32 v[52:53], s[24:25], v[120:121]
	v_add_f64_e64 v[203:204], v[203:204], -v[235:236]
	s_delay_alu instid0(VALU_DEP_3)
	v_add_f64_e32 v[48:49], v[155:156], v[48:49]
	scratch_load_b64 v[155:156], off, off offset:328 th:TH_LOAD_LU ; 8-byte Folded Reload
	v_add_f64_e32 v[52:53], v[239:240], v[52:53]
	s_wait_loadcnt 0x0
	v_add_f64_e32 v[106:107], v[155:156], v[106:107]
	v_mul_f64_e32 v[155:156], s[6:7], v[128:129]
	s_delay_alu instid0(VALU_DEP_2) | instskip(SKIP_1) | instid1(VALU_DEP_3)
	v_add_f64_e32 v[40:41], v[106:107], v[40:41]
	v_mul_f64_e32 v[106:107], s[24:25], v[104:105]
	v_add_f64_e64 v[155:156], v[155:156], -v[253:254]
	s_delay_alu instid0(VALU_DEP_3) | instskip(NEXT) | instid1(VALU_DEP_3)
	v_add_f64_e32 v[40:41], v[54:55], v[40:41]
	v_add_f64_e64 v[106:107], v[106:107], -v[205:206]
	v_mul_f64_e32 v[54:55], s[20:21], v[153:154]
	s_delay_alu instid0(VALU_DEP_3) | instskip(NEXT) | instid1(VALU_DEP_3)
	v_add_f64_e32 v[40:41], v[52:53], v[40:41]
	v_add_f64_e32 v[42:43], v[106:107], v[42:43]
	v_mul_f64_e32 v[52:53], s[20:21], v[139:140]
	s_delay_alu instid0(VALU_DEP_4)
	v_add_f64_e32 v[54:55], v[241:242], v[54:55]
	v_mul_f64_e32 v[106:107], s[34:35], v[96:97]
	v_add_f64_e32 v[40:41], v[50:51], v[40:41]
	v_add_f64_e32 v[42:43], v[203:204], v[42:43]
	v_add_f64_e64 v[52:53], v[52:53], -v[227:228]
	v_mul_f64_e32 v[50:51], s[30:31], v[165:166]
	v_add_f64_e32 v[106:107], v[233:234], v[106:107]
	v_add_f64_e32 v[40:41], v[48:49], v[40:41]
	;; [unrolled: 1-line block ×3, first 2 shown]
	v_mul_f64_e32 v[48:49], s[30:31], v[149:150]
	v_add_f64_e32 v[50:51], v[243:244], v[50:51]
	v_mul_f64_e32 v[155:156], s[24:25], v[92:93]
	v_add_f64_e32 v[44:45], v[106:107], v[44:45]
	;; [unrolled: 2-line block ×3, first 2 shown]
	v_add_f64_e32 v[52:53], v[52:53], v[42:43]
	v_add_f64_e64 v[48:49], v[48:49], -v[221:222]
	v_mul_f64_e32 v[54:55], s[24:25], v[108:109]
	v_add_f64_e64 v[155:156], v[155:156], -v[225:226]
	v_add_f64_e64 v[106:107], v[106:107], -v[231:232]
	v_add_f64_e32 v[42:43], v[50:51], v[40:41]
	v_mul_f64_e32 v[50:51], s[16:17], v[132:133]
	v_add_f64_e32 v[40:41], v[48:49], v[52:53]
	v_mul_f64_e32 v[52:53], s[6:7], v[120:121]
	;; [unrolled: 2-line block ×3, first 2 shown]
	v_add_f64_e32 v[50:51], v[159:160], v[50:51]
	s_delay_alu instid0(VALU_DEP_4) | instskip(SKIP_4) | instid1(VALU_DEP_4)
	v_add_f64_e32 v[52:53], v[118:119], v[52:53]
	v_mul_f64_e32 v[118:119], s[30:31], v[128:129]
	v_add_f64_e32 v[44:45], v[54:55], v[44:45]
	v_add_f64_e32 v[48:49], v[189:190], v[48:49]
	v_mul_f64_e32 v[54:55], s[28:29], v[153:154]
	v_add_f64_e64 v[118:119], v[118:119], -v[147:148]
	v_mul_f64_e32 v[147:148], s[16:17], v[116:117]
	v_add_f64_e32 v[44:45], v[52:53], v[44:45]
	v_mul_f64_e32 v[52:53], s[28:29], v[139:140]
	v_add_f64_e32 v[54:55], v[122:123], v[54:55]
	s_delay_alu instid0(VALU_DEP_4)
	v_add_f64_e64 v[98:99], v[147:148], -v[98:99]
	v_mul_f64_e32 v[147:148], s[34:35], v[88:89]
	v_add_f64_e32 v[44:45], v[50:51], v[44:45]
	v_add_f64_e64 v[52:53], v[52:53], -v[94:95]
	v_mul_f64_e32 v[50:51], s[8:9], v[165:166]
	v_mul_f64_e32 v[94:95], s[30:31], v[96:97]
	v_add_f64_e64 v[147:148], v[147:148], -v[213:214]
	v_add_f64_e32 v[44:45], v[48:49], v[44:45]
	v_mul_f64_e32 v[48:49], s[8:9], v[149:150]
	v_add_f64_e32 v[50:51], v[110:111], v[50:51]
	v_add_f64_e32 v[90:91], v[90:91], v[94:95]
	v_mul_f64_e32 v[110:111], s[8:9], v[92:93]
	v_mul_f64_e32 v[94:95], s[20:21], v[128:129]
	v_add_f64_e32 v[46:47], v[147:148], v[46:47]
	v_add_f64_e32 v[44:45], v[54:55], v[44:45]
	v_add_f64_e64 v[48:49], v[48:49], -v[249:250]
	v_mul_f64_e32 v[54:55], s[8:9], v[108:109]
	v_add_f64_e32 v[78:79], v[90:91], v[78:79]
	v_add_f64_e64 v[110:111], v[110:111], -v[245:246]
	v_mul_f64_e32 v[90:91], s[16:17], v[104:105]
	v_add_f64_e64 v[94:95], v[94:95], -v[187:188]
	v_add_f64_e32 v[46:47], v[155:156], v[46:47]
	v_add_f64_e32 v[54:55], v[134:135], v[54:55]
	s_delay_alu instid0(VALU_DEP_4) | instskip(NEXT) | instid1(VALU_DEP_3)
	v_add_f64_e64 v[90:91], v[90:91], -v[247:248]
	v_add_f64_e32 v[46:47], v[106:107], v[46:47]
	v_mul_f64_e32 v[106:107], s[30:31], v[88:89]
	s_delay_alu instid0(VALU_DEP_4) | instskip(NEXT) | instid1(VALU_DEP_3)
	v_add_f64_e32 v[54:55], v[54:55], v[78:79]
	v_add_f64_e32 v[46:47], v[98:99], v[46:47]
	s_delay_alu instid0(VALU_DEP_3) | instskip(SKIP_1) | instid1(VALU_DEP_3)
	v_add_f64_e64 v[106:107], v[106:107], -v[229:230]
	v_mul_f64_e32 v[98:99], s[34:35], v[116:117]
	v_add_f64_e32 v[46:47], v[118:119], v[46:47]
	s_delay_alu instid0(VALU_DEP_3) | instskip(NEXT) | instid1(VALU_DEP_3)
	v_add_f64_e32 v[80:81], v[106:107], v[80:81]
	v_add_f64_e64 v[98:99], v[98:99], -v[151:152]
	s_delay_alu instid0(VALU_DEP_3)
	v_add_f64_e32 v[52:53], v[52:53], v[46:47]
	v_add_f64_e32 v[46:47], v[50:51], v[44:45]
	v_mul_f64_e32 v[50:51], s[34:35], v[132:133]
	v_add_f64_e32 v[78:79], v[110:111], v[80:81]
	v_mul_f64_e32 v[80:81], s[6:7], v[153:154]
	;; [unrolled: 2-line block ×3, first 2 shown]
	v_mul_f64_e32 v[48:49], s[20:21], v[145:146]
	v_add_f64_e32 v[50:51], v[191:192], v[50:51]
	v_add_f64_e32 v[80:81], v[185:186], v[80:81]
	s_delay_alu instid0(VALU_DEP_4) | instskip(NEXT) | instid1(VALU_DEP_4)
	v_add_f64_e32 v[52:53], v[181:182], v[52:53]
	v_add_f64_e32 v[48:49], v[193:194], v[48:49]
	s_delay_alu instid0(VALU_DEP_2) | instskip(SKIP_2) | instid1(VALU_DEP_3)
	v_add_f64_e32 v[52:53], v[52:53], v[54:55]
	v_add_f64_e32 v[54:55], v[90:91], v[78:79]
	v_mul_f64_e32 v[78:79], s[6:7], v[139:140]
	v_add_f64_e32 v[50:51], v[50:51], v[52:53]
	s_delay_alu instid0(VALU_DEP_3) | instskip(NEXT) | instid1(VALU_DEP_3)
	v_add_f64_e32 v[52:53], v[98:99], v[54:55]
	v_add_f64_e64 v[78:79], v[78:79], -v[141:142]
	v_mul_f64_e32 v[54:55], s[28:29], v[165:166]
	s_delay_alu instid0(VALU_DEP_4) | instskip(NEXT) | instid1(VALU_DEP_4)
	v_add_f64_e32 v[48:49], v[48:49], v[50:51]
	v_add_f64_e32 v[50:51], v[94:95], v[52:53]
	v_mul_f64_e32 v[52:53], s[28:29], v[149:150]
	s_delay_alu instid0(VALU_DEP_4) | instskip(NEXT) | instid1(VALU_DEP_4)
	v_add_f64_e32 v[54:55], v[167:168], v[54:55]
	v_add_f64_e32 v[48:49], v[80:81], v[48:49]
	s_delay_alu instid0(VALU_DEP_4) | instskip(NEXT) | instid1(VALU_DEP_4)
	v_add_f64_e32 v[78:79], v[78:79], v[50:51]
	v_add_f64_e64 v[52:53], v[52:53], -v[130:131]
	v_mul_f64_e32 v[130:131], s[16:17], v[165:166]
	s_delay_alu instid0(VALU_DEP_4) | instskip(NEXT) | instid1(VALU_DEP_3)
	v_add_f64_e32 v[50:51], v[54:55], v[48:49]
	v_add_f64_e32 v[48:49], v[52:53], v[78:79]
	v_mul_f64_e32 v[78:79], s[24:25], v[96:97]
	s_delay_alu instid0(VALU_DEP_4) | instskip(NEXT) | instid1(VALU_DEP_2)
	v_fma_f64 v[84:85], v[175:176], s[18:19], v[130:131]
	v_fma_f64 v[52:53], v[100:101], s[50:51], v[78:79]
	;; [unrolled: 1-line block ×3, first 2 shown]
	s_delay_alu instid0(VALU_DEP_2) | instskip(SKIP_1) | instid1(VALU_DEP_3)
	v_add_f64_e32 v[52:53], v[52:53], v[76:77]
	v_mul_f64_e32 v[76:77], s[50:51], v[102:103]
	v_add_f64_e32 v[60:61], v[60:61], v[74:75]
	s_delay_alu instid0(VALU_DEP_2)
	v_fma_f64 v[54:55], v[88:89], s[24:25], -v[76:77]
	v_fma_f64 v[74:75], v[88:89], s[24:25], v[76:77]
	scratch_load_b64 v[76:77], off, off offset:64 th:TH_LOAD_LU ; 8-byte Folded Reload
	v_add_f64_e32 v[54:55], v[54:55], v[62:63]
	v_mul_f64_e32 v[62:63], s[6:7], v[108:109]
	v_add_f64_e32 v[68:69], v[74:75], v[68:69]
	scratch_load_b64 v[74:75], off, off offset:80 th:TH_LOAD_LU ; 8-byte Folded Reload
	v_fma_f64 v[80:81], v[112:113], s[0:1], v[62:63]
	v_fma_f64 v[62:63], v[112:113], s[42:43], v[62:63]
	s_delay_alu instid0(VALU_DEP_2) | instskip(SKIP_1) | instid1(VALU_DEP_3)
	v_add_f64_e32 v[52:53], v[80:81], v[52:53]
	v_mul_f64_e32 v[80:81], s[0:1], v[114:115]
	v_add_f64_e32 v[60:61], v[62:63], v[60:61]
	s_delay_alu instid0(VALU_DEP_2) | instskip(SKIP_1) | instid1(VALU_DEP_2)
	v_fma_f64 v[90:91], v[92:93], s[6:7], -v[80:81]
	v_fma_f64 v[62:63], v[92:93], s[6:7], v[80:81]
	v_add_f64_e32 v[54:55], v[90:91], v[54:55]
	v_mul_f64_e32 v[90:91], s[30:31], v[120:121]
	s_delay_alu instid0(VALU_DEP_3) | instskip(NEXT) | instid1(VALU_DEP_2)
	v_add_f64_e32 v[62:63], v[62:63], v[68:69]
	v_fma_f64 v[94:95], v[126:127], s[40:41], v[90:91]
	v_fma_f64 v[78:79], v[126:127], s[36:37], v[90:91]
	s_delay_alu instid0(VALU_DEP_2) | instskip(SKIP_1) | instid1(VALU_DEP_3)
	v_add_f64_e32 v[52:53], v[94:95], v[52:53]
	v_mul_f64_e32 v[94:95], s[40:41], v[124:125]
	v_add_f64_e32 v[60:61], v[78:79], v[60:61]
	v_mul_f64_e32 v[124:125], s[44:45], v[177:178]
	s_clause 0x1
	scratch_load_b64 v[78:79], off, off offset:128 th:TH_LOAD_LU
	scratch_load_b64 v[80:81], off, off offset:96 th:TH_LOAD_LU
	v_fma_f64 v[98:99], v[104:105], s[30:31], -v[94:95]
	v_fma_f64 v[68:69], v[104:105], s[30:31], v[94:95]
	s_delay_alu instid0(VALU_DEP_2) | instskip(SKIP_1) | instid1(VALU_DEP_3)
	v_add_f64_e32 v[54:55], v[98:99], v[54:55]
	v_mul_f64_e32 v[98:99], s[20:21], v[132:133]
	v_add_f64_e32 v[62:63], v[68:69], v[62:63]
	s_delay_alu instid0(VALU_DEP_2) | instskip(SKIP_1) | instid1(VALU_DEP_2)
	v_fma_f64 v[102:103], v[143:144], s[56:57], v[98:99]
	v_fma_f64 v[72:73], v[143:144], s[22:23], v[98:99]
	v_add_f64_e32 v[52:53], v[102:103], v[52:53]
	v_mul_f64_e32 v[102:103], s[56:57], v[137:138]
	s_delay_alu instid0(VALU_DEP_3) | instskip(SKIP_3) | instid1(VALU_DEP_2)
	v_add_f64_e32 v[60:61], v[72:73], v[60:61]
	scratch_load_b64 v[72:73], off, off offset:112 th:TH_LOAD_LU ; 8-byte Folded Reload
	v_fma_f64 v[106:107], v[116:117], s[20:21], -v[102:103]
	v_fma_f64 v[68:69], v[116:117], s[20:21], v[102:103]
	v_add_f64_e32 v[54:55], v[106:107], v[54:55]
	v_mul_f64_e32 v[106:107], s[8:9], v[145:146]
	s_delay_alu instid0(VALU_DEP_3) | instskip(SKIP_3) | instid1(VALU_DEP_2)
	v_add_f64_e32 v[62:63], v[68:69], v[62:63]
	scratch_load_b64 v[68:69], off, off offset:136 th:TH_LOAD_LU ; 8-byte Folded Reload
	v_fma_f64 v[110:111], v[161:162], s[10:11], v[106:107]
	v_fma_f64 v[66:67], v[161:162], s[48:49], v[106:107]
	v_add_f64_e32 v[52:53], v[110:111], v[52:53]
	v_mul_f64_e32 v[110:111], s[10:11], v[169:170]
	s_delay_alu instid0(VALU_DEP_3) | instskip(NEXT) | instid1(VALU_DEP_2)
	v_add_f64_e32 v[60:61], v[66:67], v[60:61]
	v_fma_f64 v[114:115], v[128:129], s[8:9], -v[110:111]
	v_fma_f64 v[66:67], v[128:129], s[8:9], v[110:111]
	s_delay_alu instid0(VALU_DEP_2) | instskip(SKIP_1) | instid1(VALU_DEP_3)
	v_add_f64_e32 v[54:55], v[114:115], v[54:55]
	v_mul_f64_e32 v[114:115], s[34:35], v[153:154]
	v_add_f64_e32 v[62:63], v[66:67], v[62:63]
	v_fma_f64 v[66:67], v[149:150], s[16:17], v[124:125]
	s_delay_alu instid0(VALU_DEP_3) | instskip(SKIP_1) | instid1(VALU_DEP_2)
	v_fma_f64 v[118:119], v[171:172], s[38:39], v[114:115]
	v_fma_f64 v[64:65], v[171:172], s[46:47], v[114:115]
	v_add_f64_e32 v[52:53], v[118:119], v[52:53]
	v_mul_f64_e32 v[118:119], s[38:39], v[173:174]
	s_delay_alu instid0(VALU_DEP_3) | instskip(NEXT) | instid1(VALU_DEP_2)
	v_add_f64_e32 v[60:61], v[64:65], v[60:61]
	v_fma_f64 v[64:65], v[139:140], s[34:35], v[118:119]
	v_fma_f64 v[122:123], v[139:140], s[34:35], -v[118:119]
	s_delay_alu instid0(VALU_DEP_2) | instskip(NEXT) | instid1(VALU_DEP_4)
	v_add_f64_e32 v[64:65], v[64:65], v[62:63]
	v_add_f64_e32 v[62:63], v[84:85], v[60:61]
	scratch_load_b64 v[84:85], off, off offset:32 th:TH_LOAD_LU ; 8-byte Folded Reload
	v_add_f64_e32 v[122:123], v[122:123], v[54:55]
	v_fma_f64 v[54:55], v[175:176], s[44:45], v[130:131]
	v_add_f64_e32 v[60:61], v[66:67], v[64:65]
	scratch_load_b64 v[66:67], off, off offset:152 th:TH_LOAD_LU ; 8-byte Folded Reload
	v_mul_f64_e32 v[64:65], s[28:29], v[145:146]
	v_add_f64_e32 v[54:55], v[54:55], v[52:53]
	v_fma_f64 v[52:53], v[149:150], s[16:17], -v[124:125]
	s_delay_alu instid0(VALU_DEP_1) | instskip(SKIP_1) | instid1(VALU_DEP_4)
	v_add_f64_e32 v[52:53], v[52:53], v[122:123]
	s_wait_loadcnt 0x0
	v_add_f64_e32 v[64:65], v[66:67], v[64:65]
	v_mul_f64_e32 v[66:67], s[24:25], v[132:133]
	s_delay_alu instid0(VALU_DEP_1) | instskip(SKIP_1) | instid1(VALU_DEP_1)
	v_add_f64_e32 v[66:67], v[68:69], v[66:67]
	v_mul_f64_e32 v[68:69], s[20:21], v[120:121]
	v_add_f64_e32 v[68:69], v[72:73], v[68:69]
	v_mul_f64_e32 v[72:73], s[16:17], v[108:109]
	s_delay_alu instid0(VALU_DEP_1) | instskip(SKIP_1) | instid1(VALU_DEP_1)
	v_add_f64_e32 v[72:73], v[74:75], v[72:73]
	v_mul_f64_e32 v[74:75], s[8:9], v[96:97]
	v_add_f64_e32 v[74:75], v[76:77], v[74:75]
	v_mul_f64_e32 v[76:77], s[28:29], v[128:129]
	s_delay_alu instid0(VALU_DEP_2)
	v_add_f64_e32 v[74:75], v[74:75], v[82:83]
	scratch_load_b64 v[82:83], off, off offset:72 th:TH_LOAD_LU ; 8-byte Folded Reload
	v_add_f64_e64 v[76:77], v[76:77], -v[78:79]
	v_mul_f64_e32 v[78:79], s[24:25], v[116:117]
	v_add_f64_e32 v[72:73], v[72:73], v[74:75]
	v_mul_f64_e32 v[74:75], s[30:31], v[153:154]
	s_delay_alu instid0(VALU_DEP_3) | instskip(SKIP_1) | instid1(VALU_DEP_4)
	v_add_f64_e64 v[78:79], v[78:79], -v[80:81]
	v_mul_f64_e32 v[80:81], s[8:9], v[88:89]
	v_add_f64_e32 v[68:69], v[68:69], v[72:73]
	v_mul_f64_e32 v[72:73], s[30:31], v[139:140]
	s_delay_alu instid0(VALU_DEP_3) | instskip(SKIP_1) | instid1(VALU_DEP_4)
	v_add_f64_e64 v[80:81], v[80:81], -v[84:85]
	v_mul_f64_e32 v[84:85], s[16:17], v[92:93]
	v_add_f64_e32 v[66:67], v[66:67], v[68:69]
	s_delay_alu instid0(VALU_DEP_3) | instskip(NEXT) | instid1(VALU_DEP_3)
	v_add_f64_e32 v[70:71], v[80:81], v[70:71]
	v_add_f64_e64 v[84:85], v[84:85], -v[86:87]
	v_mul_f64_e32 v[80:81], s[20:21], v[104:105]
	s_delay_alu instid0(VALU_DEP_4) | instskip(NEXT) | instid1(VALU_DEP_3)
	v_add_f64_e32 v[64:65], v[64:65], v[66:67]
	v_add_f64_e32 v[70:71], v[84:85], v[70:71]
	s_wait_loadcnt 0x0
	s_delay_alu instid0(VALU_DEP_3)
	v_add_f64_e64 v[80:81], v[80:81], -v[82:83]
	scratch_load_b64 v[82:83], off, off offset:176 th:TH_LOAD_LU ; 8-byte Folded Reload
	v_add_f64_e32 v[70:71], v[80:81], v[70:71]
	scratch_load_b64 v[80:81], off, off offset:144 th:TH_LOAD_LU ; 8-byte Folded Reload
	v_add_f64_e32 v[68:69], v[78:79], v[70:71]
	scratch_load_b64 v[78:79], off, off offset:192 th:TH_LOAD_LU ; 8-byte Folded Reload
	v_mul_f64_e32 v[70:71], s[34:35], v[165:166]
	v_add_f64_e32 v[66:67], v[76:77], v[68:69]
	scratch_load_b64 v[76:77], off, off offset:160 th:TH_LOAD_LU ; 8-byte Folded Reload
	v_mul_f64_e32 v[68:69], s[34:35], v[149:150]
	s_wait_loadcnt 0x3
	v_add_f64_e32 v[74:75], v[82:83], v[74:75]
	s_wait_loadcnt 0x2
	v_add_f64_e64 v[72:73], v[72:73], -v[80:81]
	s_delay_alu instid0(VALU_DEP_2) | instskip(SKIP_2) | instid1(VALU_DEP_3)
	v_add_f64_e32 v[64:65], v[74:75], v[64:65]
	s_wait_loadcnt 0x1
	v_add_f64_e32 v[70:71], v[78:79], v[70:71]
	v_add_f64_e32 v[72:73], v[72:73], v[66:67]
	s_wait_loadcnt 0x0
	v_add_f64_e64 v[68:69], v[68:69], -v[76:77]
	s_delay_alu instid0(VALU_DEP_3) | instskip(NEXT) | instid1(VALU_DEP_2)
	v_add_f64_e32 v[66:67], v[70:71], v[64:65]
	v_add_f64_e32 v[64:65], v[68:69], v[72:73]
	s_clause 0x1
	scratch_load_b32 v68, off, off
	scratch_load_b32 v69, off, off offset:4
	s_wait_loadcnt 0x1
	v_mul_lo_u16 v68, v68, 17
	s_delay_alu instid0(VALU_DEP_1) | instskip(SKIP_1) | instid1(VALU_DEP_1)
	v_and_b32_e32 v68, 0xffff, v68
	s_wait_loadcnt 0x0
	v_add_lshl_u32 v68, v69, v68, 4
	ds_store_b128 v68, v[36:39] offset:32
	ds_store_b128 v68, v[40:43] offset:48
	ds_store_b128 v68, v[44:47] offset:64
	ds_store_b128 v68, v[48:51] offset:80
	ds_store_b128 v68, v[52:55] offset:96
	ds_store_b128 v68, v[56:59] offset:112
	ds_store_b128 v68, v[28:31] offset:128
	ds_store_b128 v68, v[16:19] offset:192
	ds_store_b128 v68, v[12:15] offset:208
	ds_store_b128 v68, v[8:11] offset:224
	ds_store_b128 v68, v[4:7] offset:240
	ds_store_b128 v68, v[20:23] offset:144
	ds_store_b128 v68, v[32:35] offset:160
	ds_store_b128 v68, v[60:63] offset:176
	ds_store_b128 v68, v[64:67] offset:16
	ds_store_b128 v68, v[24:27]
	ds_store_b128 v68, v[0:3] offset:256
.LBB0_7:
	s_or_b32 exec_lo, exec_lo, s33
	scratch_load_b32 v35, off, off          ; 4-byte Folded Reload
	s_load_b128 s[4:7], s[4:5], 0x0
	global_wb scope:SCOPE_SE
	s_wait_loadcnt_dscnt 0x0
	s_wait_kmcnt 0x0
	s_barrier_signal -1
	s_barrier_wait -1
	global_inv scope:SCOPE_SE
	v_add_co_u32 v52, null, v35, 34
	v_mad_co_u64_u32 v[93:94], null, v35, 48, s[2:3]
	s_clause 0x1
	global_load_b128 v[28:31], v[93:94], off
	global_load_b128 v[24:27], v[93:94], off offset:16
	v_and_b32_e32 v20, 0xff, v52
	s_delay_alu instid0(VALU_DEP_1) | instskip(NEXT) | instid1(VALU_DEP_1)
	v_mul_lo_u16 v20, 0xf1, v20
	v_lshrrev_b16 v20, 12, v20
	s_delay_alu instid0(VALU_DEP_1) | instskip(NEXT) | instid1(VALU_DEP_1)
	v_mul_lo_u16 v20, v20, 17
	v_sub_nc_u16 v20, v52, v20
	s_delay_alu instid0(VALU_DEP_1) | instskip(NEXT) | instid1(VALU_DEP_1)
	v_and_b32_e32 v34, 0xff, v20
	v_mad_co_u64_u32 v[32:33], null, v34, 48, s[2:3]
	s_clause 0x3
	global_load_b128 v[20:23], v[93:94], off offset:32
	global_load_b128 v[211:214], v[32:33], off
	global_load_b128 v[207:210], v[32:33], off offset:16
	global_load_b128 v[203:206], v[32:33], off offset:32
	scratch_load_b32 v36, off, off offset:4 ; 4-byte Folded Reload
	v_lshlrev_b32_e32 v32, 5, v35
	v_sub_co_u32 v93, s0, v93, v136
	s_wait_alu 0xf1ff
	v_subrev_co_ci_u32_e64 v94, s0, 0, v94, s0
	s_delay_alu instid0(VALU_DEP_3)
	v_add_nc_u32_e32 v33, 0x220, v32
	v_add_nc_u32_e32 v32, 0x660, v32
	s_mov_b32 s0, 0xe8584caa
	s_mov_b32 s1, 0x3febb67a
	s_wait_loadcnt 0x0
	v_add_lshl_u32 v137, v36, v35, 4
	ds_load_b128 v[44:47], v137 offset:816
	ds_load_b128 v[48:51], v137 offset:1632
	;; [unrolled: 1-line block ×10, first 2 shown]
	v_add_lshl_u32 v235, v36, v34, 4
	v_lshlrev_b32_e32 v34, 5, v52
	s_wait_dscnt 0x9
	v_mul_f64_e32 v[85:86], v[46:47], v[30:31]
	v_mul_f64_e32 v[87:88], v[44:45], v[30:31]
	s_wait_dscnt 0x8
	v_mul_f64_e32 v[89:90], v[50:51], v[26:27]
	v_mul_f64_e32 v[91:92], v[48:49], v[26:27]
	;; [unrolled: 3-line block ×9, first 2 shown]
	v_fma_f64 v[85:86], v[44:45], v[28:29], -v[85:86]
	v_fma_f64 v[87:88], v[46:47], v[28:29], v[87:88]
	v_fma_f64 v[89:90], v[48:49], v[24:25], -v[89:90]
	v_fma_f64 v[91:92], v[50:51], v[24:25], v[91:92]
	;; [unrolled: 2-line block ×9, first 2 shown]
	ds_load_b128 v[44:47], v137
	ds_load_b128 v[48:51], v137 offset:272
	global_wb scope:SCOPE_SE
	s_wait_dscnt 0x0
	s_barrier_signal -1
	s_barrier_wait -1
	global_inv scope:SCOPE_SE
	v_add_f64_e64 v[89:90], v[44:45], -v[89:90]
	v_add_f64_e64 v[91:92], v[46:47], -v[91:92]
	;; [unrolled: 1-line block ×12, first 2 shown]
	v_fma_f64 v[75:76], v[44:45], 2.0, -v[89:90]
	v_fma_f64 v[79:80], v[46:47], 2.0, -v[91:92]
	;; [unrolled: 1-line block ×4, first 2 shown]
	v_add_f64_e64 v[44:45], v[89:90], -v[55:56]
	v_add_f64_e32 v[46:47], v[91:92], v[53:54]
	v_fma_f64 v[85:86], v[48:49], 2.0, -v[95:96]
	v_fma_f64 v[87:88], v[50:51], 2.0, -v[97:98]
	;; [unrolled: 1-line block ×4, first 2 shown]
	v_add_f64_e64 v[48:49], v[95:96], -v[63:64]
	v_fma_f64 v[103:104], v[81:82], 2.0, -v[99:100]
	v_fma_f64 v[105:106], v[83:84], 2.0, -v[101:102]
	;; [unrolled: 1-line block ×4, first 2 shown]
	v_add_f64_e32 v[63:64], v[101:102], v[73:74]
	v_add_f64_e64 v[53:54], v[75:76], -v[67:68]
	v_add_f64_e64 v[55:56], v[79:80], -v[77:78]
	;; [unrolled: 1-line block ×4, first 2 shown]
	v_add_f64_e32 v[50:51], v[97:98], v[61:62]
	v_add_f64_e64 v[61:62], v[99:100], -v[65:66]
	v_fma_f64 v[73:74], v[95:96], 2.0, -v[48:49]
	v_add_f64_e64 v[65:66], v[103:104], -v[69:70]
	v_add_f64_e64 v[67:68], v[105:106], -v[71:72]
	v_fma_f64 v[69:70], v[89:90], 2.0, -v[44:45]
	v_fma_f64 v[71:72], v[91:92], 2.0, -v[46:47]
	;; [unrolled: 1-line block ×11, first 2 shown]
	ds_store_b128 v137, v[53:56] offset:544
	ds_store_b128 v137, v[44:47] offset:816
	ds_store_b128 v137, v[57:60] offset:1632
	ds_store_b128 v137, v[48:51] offset:1904
	ds_store_b128 v137, v[77:80]
	ds_store_b128 v137, v[69:72] offset:272
	ds_store_b128 v137, v[81:84] offset:1088
	;; [unrolled: 1-line block ×7, first 2 shown]
	global_wb scope:SCOPE_SE
	s_wait_dscnt 0x0
	s_barrier_signal -1
	s_barrier_wait -1
	global_inv scope:SCOPE_SE
	s_clause 0x7
	global_load_b128 v[68:71], v[93:94], off offset:816
	global_load_b128 v[64:67], v[93:94], off offset:832
	global_load_b128 v[215:218], v33, s[2:3] offset:816
	global_load_b128 v[72:75], v33, s[2:3] offset:832
	;; [unrolled: 1-line block ×6, first 2 shown]
	ds_load_b128 v[76:79], v137 offset:1088
	ds_load_b128 v[80:83], v137 offset:2176
	;; [unrolled: 1-line block ×8, first 2 shown]
	s_mov_b32 s3, 0xbfebb67a
	s_wait_alu 0xfffe
	s_mov_b32 s2, s0
	s_wait_loadcnt_dscnt 0x303
	v_mul_f64_e32 v[124:125], v[94:95], v[225:226]
	v_mul_f64_e32 v[108:109], v[78:79], v[70:71]
	;; [unrolled: 1-line block ×10, first 2 shown]
	s_wait_loadcnt_dscnt 0x202
	v_mul_f64_e32 v[128:129], v[98:99], v[250:251]
	v_mul_f64_e32 v[130:131], v[96:97], v[250:251]
	s_wait_loadcnt_dscnt 0x101
	v_mul_f64_e32 v[132:133], v[102:103], v[233:234]
	v_mul_f64_e32 v[134:135], v[100:101], v[233:234]
	;; [unrolled: 3-line block ×3, first 2 shown]
	v_fma_f64 v[92:93], v[92:93], v[223:224], -v[124:125]
	v_fma_f64 v[108:109], v[76:77], v[68:69], -v[108:109]
	v_fma_f64 v[110:111], v[78:79], v[68:69], v[110:111]
	v_fma_f64 v[112:113], v[80:81], v[64:65], -v[112:113]
	v_fma_f64 v[114:115], v[82:83], v[64:65], v[114:115]
	;; [unrolled: 2-line block ×4, first 2 shown]
	ds_load_b128 v[76:79], v137
	ds_load_b128 v[80:83], v137 offset:272
	ds_load_b128 v[84:87], v137 offset:544
	;; [unrolled: 1-line block ×3, first 2 shown]
	scratch_load_b32 v32, off, off offset:8 ; 4-byte Folded Reload
	v_fma_f64 v[94:95], v[94:95], v[223:224], v[126:127]
	v_fma_f64 v[96:97], v[96:97], v[248:249], -v[128:129]
	v_fma_f64 v[98:99], v[98:99], v[248:249], v[130:131]
	v_fma_f64 v[100:101], v[100:101], v[231:232], -v[132:133]
	;; [unrolled: 2-line block ×3, first 2 shown]
	v_fma_f64 v[106:107], v[106:107], v[227:228], v[142:143]
	s_wait_dscnt 0x1
	v_add_f64_e32 v[152:153], v[84:85], v[92:93]
	v_add_f64_e32 v[144:145], v[76:77], v[108:109]
	;; [unrolled: 1-line block ×4, first 2 shown]
	v_add_f64_e64 v[146:147], v[110:111], -v[114:115]
	v_add_f64_e32 v[110:111], v[78:79], v[110:111]
	v_add_f64_e32 v[128:129], v[116:117], v[120:121]
	;; [unrolled: 1-line block ×5, first 2 shown]
	v_add_f64_e64 v[108:109], v[108:109], -v[112:113]
	v_add_f64_e64 v[160:161], v[118:119], -v[122:123]
	v_add_f64_e32 v[154:155], v[86:87], v[94:95]
	v_add_f64_e32 v[132:133], v[92:93], v[96:97]
	;; [unrolled: 1-line block ×3, first 2 shown]
	s_wait_dscnt 0x0
	v_add_f64_e32 v[156:157], v[88:89], v[100:101]
	v_add_f64_e32 v[158:159], v[90:91], v[102:103]
	;; [unrolled: 1-line block ×4, first 2 shown]
	v_add_f64_e64 v[162:163], v[116:117], -v[120:121]
	v_add_f64_e64 v[164:165], v[94:95], -v[98:99]
	;; [unrolled: 1-line block ×5, first 2 shown]
	v_add_f64_e32 v[100:101], v[152:153], v[96:97]
	v_fma_f64 v[124:125], v[124:125], -0.5, v[76:77]
	v_fma_f64 v[126:127], v[126:127], -0.5, v[78:79]
	v_add_f64_e32 v[76:77], v[144:145], v[112:113]
	v_add_f64_e32 v[78:79], v[110:111], v[114:115]
	v_fma_f64 v[128:129], v[128:129], -0.5, v[80:81]
	v_fma_f64 v[130:131], v[130:131], -0.5, v[82:83]
	v_add_f64_e32 v[102:103], v[154:155], v[98:99]
	v_fma_f64 v[132:133], v[132:133], -0.5, v[84:85]
	v_fma_f64 v[134:135], v[134:135], -0.5, v[86:87]
	v_add_f64_e32 v[116:117], v[156:157], v[104:105]
	v_add_f64_e32 v[118:119], v[158:159], v[106:107]
	v_fma_f64 v[140:141], v[140:141], -0.5, v[88:89]
	v_fma_f64 v[142:143], v[142:143], -0.5, v[90:91]
	v_add_f64_e32 v[88:89], v[148:149], v[120:121]
	v_add_f64_e32 v[90:91], v[150:151], v[122:123]
	v_fma_f64 v[80:81], v[146:147], s[0:1], v[124:125]
	s_wait_alu 0xfffe
	v_fma_f64 v[84:85], v[146:147], s[2:3], v[124:125]
	v_fma_f64 v[82:83], v[108:109], s[2:3], v[126:127]
	v_fma_f64 v[86:87], v[108:109], s[0:1], v[126:127]
	v_fma_f64 v[92:93], v[160:161], s[0:1], v[128:129]
	v_fma_f64 v[96:97], v[160:161], s[2:3], v[128:129]
	v_fma_f64 v[94:95], v[162:163], s[2:3], v[130:131]
	v_fma_f64 v[98:99], v[162:163], s[0:1], v[130:131]
	v_fma_f64 v[112:113], v[164:165], s[0:1], v[132:133]
	v_fma_f64 v[120:121], v[164:165], s[2:3], v[132:133]
	v_fma_f64 v[114:115], v[166:167], s[2:3], v[134:135]
	v_fma_f64 v[122:123], v[166:167], s[0:1], v[134:135]
	v_fma_f64 v[108:109], v[168:169], s[0:1], v[140:141]
	v_fma_f64 v[104:105], v[168:169], s[2:3], v[140:141]
	v_fma_f64 v[110:111], v[170:171], s[2:3], v[142:143]
	v_fma_f64 v[106:107], v[170:171], s[0:1], v[142:143]
	s_wait_loadcnt 0x0
	v_lshl_add_u32 v138, v35, 4, v32
	v_add_nc_u32_e32 v140, v136, v32
	ds_store_b128 v138, v[76:79]
	ds_store_b128 v138, v[88:91] offset:272
	ds_store_b128 v138, v[84:87] offset:2176
	;; [unrolled: 1-line block ×11, first 2 shown]
	global_wb scope:SCOPE_SE
	s_wait_dscnt 0x0
	s_barrier_signal -1
	s_barrier_wait -1
	global_inv scope:SCOPE_SE
	s_and_saveexec_b32 s2, vcc_lo
	s_cbranch_execz .LBB0_9
; %bb.8:
	global_load_b128 v[124:127], v136, s[12:13] offset:3264
	s_add_nc_u64 s[0:1], s[12:13], 0xcc0
	s_clause 0x3
	global_load_b128 v[128:131], v136, s[0:1] offset:192
	global_load_b128 v[132:135], v136, s[0:1] offset:384
	;; [unrolled: 1-line block ×4, first 2 shown]
	ds_load_b128 v[149:152], v138
	ds_load_b128 v[153:156], v138 offset:192
	ds_load_b128 v[157:160], v138 offset:384
	s_wait_loadcnt_dscnt 0x301
	v_mul_f64_e32 v[165:166], v[155:156], v[130:131]
	v_mul_f64_e32 v[161:162], v[151:152], v[126:127]
	;; [unrolled: 1-line block ×4, first 2 shown]
	s_delay_alu instid0(VALU_DEP_4) | instskip(NEXT) | instid1(VALU_DEP_4)
	v_fma_f64 v[153:154], v[153:154], v[128:129], -v[165:166]
	v_fma_f64 v[149:150], v[149:150], v[124:125], -v[161:162]
	s_delay_alu instid0(VALU_DEP_4)
	v_fma_f64 v[151:152], v[151:152], v[124:125], v[126:127]
	ds_load_b128 v[124:127], v138 offset:576
	global_load_b128 v[161:164], v136, s[0:1] offset:960
	v_fma_f64 v[155:156], v[155:156], v[128:129], v[130:131]
	s_wait_loadcnt_dscnt 0x301
	v_mul_f64_e32 v[128:129], v[159:160], v[134:135]
	v_mul_f64_e32 v[130:131], v[157:158], v[134:135]
	s_wait_loadcnt_dscnt 0x200
	v_mul_f64_e32 v[165:166], v[126:127], v[143:144]
	v_mul_f64_e32 v[143:144], v[124:125], v[143:144]
	s_delay_alu instid0(VALU_DEP_4) | instskip(NEXT) | instid1(VALU_DEP_4)
	v_fma_f64 v[128:129], v[157:158], v[132:133], -v[128:129]
	v_fma_f64 v[130:131], v[159:160], v[132:133], v[130:131]
	ds_load_b128 v[132:135], v138 offset:768
	ds_load_b128 v[157:160], v138 offset:960
	v_fma_f64 v[124:125], v[124:125], v[141:142], -v[165:166]
	v_fma_f64 v[126:127], v[126:127], v[141:142], v[143:144]
	global_load_b128 v[141:144], v136, s[0:1] offset:1152
	s_wait_loadcnt_dscnt 0x201
	v_mul_f64_e32 v[165:166], v[134:135], v[147:148]
	v_mul_f64_e32 v[147:148], v[132:133], v[147:148]
	s_delay_alu instid0(VALU_DEP_2) | instskip(NEXT) | instid1(VALU_DEP_2)
	v_fma_f64 v[132:133], v[132:133], v[145:146], -v[165:166]
	v_fma_f64 v[134:135], v[134:135], v[145:146], v[147:148]
	global_load_b128 v[145:148], v136, s[0:1] offset:1344
	s_wait_loadcnt_dscnt 0x200
	v_mul_f64_e32 v[165:166], v[159:160], v[163:164]
	v_mul_f64_e32 v[163:164], v[157:158], v[163:164]
	s_delay_alu instid0(VALU_DEP_2) | instskip(NEXT) | instid1(VALU_DEP_2)
	v_fma_f64 v[157:158], v[157:158], v[161:162], -v[165:166]
	v_fma_f64 v[159:160], v[159:160], v[161:162], v[163:164]
	ds_load_b128 v[161:164], v138 offset:1152
	ds_load_b128 v[165:168], v138 offset:1344
	s_wait_loadcnt_dscnt 0x101
	v_mul_f64_e32 v[169:170], v[163:164], v[143:144]
	v_mul_f64_e32 v[143:144], v[161:162], v[143:144]
	s_delay_alu instid0(VALU_DEP_2) | instskip(NEXT) | instid1(VALU_DEP_2)
	v_fma_f64 v[161:162], v[161:162], v[141:142], -v[169:170]
	v_fma_f64 v[163:164], v[163:164], v[141:142], v[143:144]
	s_wait_loadcnt_dscnt 0x0
	v_mul_f64_e32 v[141:142], v[167:168], v[147:148]
	v_mul_f64_e32 v[143:144], v[165:166], v[147:148]
	s_delay_alu instid0(VALU_DEP_2) | instskip(NEXT) | instid1(VALU_DEP_2)
	v_fma_f64 v[141:142], v[165:166], v[145:146], -v[141:142]
	v_fma_f64 v[143:144], v[167:168], v[145:146], v[143:144]
	s_clause 0x1
	global_load_b128 v[145:148], v136, s[0:1] offset:1536
	global_load_b128 v[165:168], v136, s[0:1] offset:1728
	ds_load_b128 v[169:172], v138 offset:1536
	ds_load_b128 v[173:176], v138 offset:1728
	s_wait_loadcnt_dscnt 0x101
	v_mul_f64_e32 v[177:178], v[171:172], v[147:148]
	v_mul_f64_e32 v[147:148], v[169:170], v[147:148]
	s_delay_alu instid0(VALU_DEP_2) | instskip(NEXT) | instid1(VALU_DEP_2)
	v_fma_f64 v[169:170], v[169:170], v[145:146], -v[177:178]
	v_fma_f64 v[171:172], v[171:172], v[145:146], v[147:148]
	s_wait_loadcnt_dscnt 0x0
	v_mul_f64_e32 v[145:146], v[175:176], v[167:168]
	v_mul_f64_e32 v[147:148], v[173:174], v[167:168]
	s_delay_alu instid0(VALU_DEP_2) | instskip(NEXT) | instid1(VALU_DEP_2)
	v_fma_f64 v[145:146], v[173:174], v[165:166], -v[145:146]
	v_fma_f64 v[147:148], v[175:176], v[165:166], v[147:148]
	s_clause 0x1
	global_load_b128 v[165:168], v136, s[0:1] offset:1920
	global_load_b128 v[173:176], v136, s[0:1] offset:2112
	;; [unrolled: 17-line block ×4, first 2 shown]
	ds_load_b128 v[193:196], v138 offset:2688
	ds_load_b128 v[197:200], v138 offset:2880
	s_wait_loadcnt_dscnt 0x101
	v_mul_f64_e32 v[201:202], v[195:196], v[183:184]
	v_mul_f64_e32 v[183:184], v[193:194], v[183:184]
	s_delay_alu instid0(VALU_DEP_2) | instskip(NEXT) | instid1(VALU_DEP_2)
	v_fma_f64 v[193:194], v[193:194], v[181:182], -v[201:202]
	v_fma_f64 v[195:196], v[195:196], v[181:182], v[183:184]
	s_wait_loadcnt_dscnt 0x0
	v_mul_f64_e32 v[181:182], v[199:200], v[191:192]
	v_mul_f64_e32 v[183:184], v[197:198], v[191:192]
	s_delay_alu instid0(VALU_DEP_2) | instskip(NEXT) | instid1(VALU_DEP_2)
	v_fma_f64 v[181:182], v[197:198], v[189:190], -v[181:182]
	v_fma_f64 v[183:184], v[199:200], v[189:190], v[183:184]
	global_load_b128 v[189:192], v136, s[0:1] offset:3072
	ds_load_b128 v[197:200], v138 offset:3072
	s_wait_loadcnt_dscnt 0x0
	v_mul_f64_e32 v[201:202], v[199:200], v[191:192]
	v_mul_f64_e32 v[191:192], v[197:198], v[191:192]
	s_delay_alu instid0(VALU_DEP_2) | instskip(NEXT) | instid1(VALU_DEP_2)
	v_fma_f64 v[197:198], v[197:198], v[189:190], -v[201:202]
	v_fma_f64 v[199:200], v[199:200], v[189:190], v[191:192]
	ds_store_b128 v138, v[149:152]
	ds_store_b128 v138, v[153:156] offset:192
	ds_store_b128 v138, v[128:131] offset:384
	;; [unrolled: 1-line block ×16, first 2 shown]
.LBB0_9:
	s_wait_alu 0xfffe
	s_or_b32 exec_lo, exec_lo, s2
	global_wb scope:SCOPE_SE
	s_wait_dscnt 0x0
	s_barrier_signal -1
	s_barrier_wait -1
	global_inv scope:SCOPE_SE
	s_and_saveexec_b32 s0, vcc_lo
	s_cbranch_execz .LBB0_11
; %bb.10:
	ds_load_b128 v[76:79], v138
	ds_load_b128 v[80:83], v138 offset:192
	ds_load_b128 v[84:87], v138 offset:384
	;; [unrolled: 1-line block ×16, first 2 shown]
.LBB0_11:
	s_wait_alu 0xfffe
	s_or_b32 exec_lo, exec_lo, s0
	v_add_nc_u32_e32 v125, 0x220, v140
	v_add_nc_u32_e32 v124, 0x330, v140
	global_wb scope:SCOPE_SE
	s_wait_dscnt 0x0
	s_barrier_signal -1
	s_barrier_wait -1
	global_inv scope:SCOPE_SE
	s_and_saveexec_b32 s33, vcc_lo
	s_cbranch_execz .LBB0_13
; %bb.12:
	v_add_f64_e32 v[126:127], v[76:77], v[80:81]
	s_clause 0x1
	scratch_store_b32 off, v124, off offset:64
	scratch_store_b32 off, v125, off offset:72
	v_add_f64_e32 v[124:125], v[78:79], v[82:83]
	v_add_f64_e64 v[134:135], v[84:85], -v[4:5]
	s_mov_b32 s24, 0x6c9a05f6
	s_mov_b32 s25, 0xbfe9895b
	;; [unrolled: 1-line block ×11, first 2 shown]
	s_wait_alu 0xfffe
	s_mov_b32 s42, s26
	s_mov_b32 s16, 0x3259b75e
	;; [unrolled: 1-line block ×6, first 2 shown]
	s_wait_alu 0xfffe
	s_mov_b32 s36, s44
	s_mov_b32 s34, 0x2a9d6da3
	;; [unrolled: 1-line block ×5, first 2 shown]
	s_wait_alu 0xfffe
	s_mov_b32 s48, s34
	s_mov_b32 s19, 0x3fdc86fa
	;; [unrolled: 1-line block ×11, first 2 shown]
	s_wait_alu 0xfffe
	s_mov_b32 s28, s40
	v_add_f64_e32 v[126:127], v[84:85], v[126:127]
	v_add_f64_e32 v[84:85], v[4:5], v[84:85]
	;; [unrolled: 1-line block ×3, first 2 shown]
	s_mov_b32 s2, 0x910ea3b9
	s_mov_b32 s0, 0x7faef3
	;; [unrolled: 1-line block ×6, first 2 shown]
	s_clause 0x1
	scratch_store_b128 off, v[203:206], off offset:32
	scratch_store_b128 off, v[64:67], off offset:48
	v_dual_mov_b32 v64, v207 :: v_dual_mov_b32 v65, v208
	v_dual_mov_b32 v66, v209 :: v_dual_mov_b32 v67, v210
	;; [unrolled: 1-line block ×8, first 2 shown]
	s_mov_b32 s51, 0x3fe9895b
	s_mov_b32 s50, s24
	;; [unrolled: 1-line block ×4, first 2 shown]
	v_mov_b32_e32 v139, v255
	v_add_f64_e32 v[126:127], v[88:89], v[126:127]
	v_add_f64_e32 v[124:125], v[90:91], v[124:125]
	s_delay_alu instid0(VALU_DEP_2) | instskip(NEXT) | instid1(VALU_DEP_2)
	v_add_f64_e32 v[126:127], v[92:93], v[126:127]
	v_add_f64_e32 v[124:125], v[94:95], v[124:125]
	s_delay_alu instid0(VALU_DEP_2) | instskip(NEXT) | instid1(VALU_DEP_2)
	;; [unrolled: 3-line block ×4, first 2 shown]
	v_add_f64_e32 v[126:127], v[112:113], v[126:127]
	v_add_f64_e32 v[124:125], v[114:115], v[124:125]
	s_delay_alu instid0(VALU_DEP_2) | instskip(SKIP_1) | instid1(VALU_DEP_3)
	v_add_f64_e32 v[130:131], v[120:121], v[126:127]
	v_add_f64_e64 v[126:127], v[120:121], -v[116:117]
	v_add_f64_e32 v[128:129], v[122:123], v[124:125]
	v_add_f64_e32 v[124:125], v[122:123], v[118:119]
	v_add_f64_e64 v[122:123], v[122:123], -v[118:119]
	v_add_f64_e32 v[120:121], v[120:121], v[116:117]
	v_add_f64_e32 v[130:131], v[116:117], v[130:131]
	;; [unrolled: 1-line block ×4, first 2 shown]
	v_add_f64_e64 v[118:119], v[112:113], -v[108:109]
	v_add_f64_e32 v[112:113], v[112:113], v[108:109]
	v_add_f64_e64 v[114:115], v[114:115], -v[110:111]
	v_mul_f64_e32 v[212:213], s[26:27], v[126:127]
	v_mul_f64_e32 v[36:37], s[38:39], v[126:127]
	;; [unrolled: 1-line block ×4, first 2 shown]
	v_add_f64_e32 v[130:131], v[108:109], v[130:131]
	v_add_f64_e32 v[108:109], v[106:107], v[102:103]
	;; [unrolled: 1-line block ×3, first 2 shown]
	v_add_f64_e64 v[128:129], v[102:103], -v[106:107]
	v_add_f64_e64 v[110:111], v[100:101], -v[104:105]
	v_add_f64_e32 v[100:101], v[104:105], v[100:101]
	v_add_f64_e32 v[102:103], v[18:19], v[98:99]
	v_add_f64_e64 v[98:99], v[98:99], -v[18:19]
	v_mul_f64_e32 v[34:35], s[44:45], v[114:115]
	v_mul_f64_e32 v[238:239], s[42:43], v[118:119]
	;; [unrolled: 1-line block ×3, first 2 shown]
	s_wait_alu 0xfffe
	v_fma_f64 v[38:39], v[124:125], s[2:3], -v[36:37]
	v_mul_f64_e32 v[56:57], s[50:51], v[114:115]
	v_fma_f64 v[36:37], v[124:125], s[2:3], v[36:37]
	v_add_f64_e32 v[130:131], v[104:105], v[130:131]
	v_add_f64_e64 v[104:105], v[96:97], -v[16:17]
	v_add_f64_e32 v[106:107], v[106:107], v[132:133]
	v_add_f64_e32 v[96:97], v[16:17], v[96:97]
	v_mul_f64_e32 v[198:199], s[24:25], v[110:111]
	v_mul_f64_e32 v[236:237], s[28:29], v[110:111]
	v_mul_f64_e32 v[200:201], s[28:29], v[128:129]
	v_mul_f64_e32 v[202:203], s[34:35], v[98:99]
	v_mul_f64_e32 v[48:49], s[36:37], v[98:99]
	v_mul_f64_e32 v[52:53], s[38:39], v[128:129]
	v_fma_f64 v[58:59], v[112:113], s[8:9], v[56:57]
	v_add_f64_e32 v[130:131], v[16:17], v[130:131]
	v_add_f64_e32 v[16:17], v[92:93], v[12:13]
	;; [unrolled: 1-line block ×3, first 2 shown]
	v_add_f64_e64 v[106:107], v[92:93], -v[12:13]
	v_add_f64_e32 v[18:19], v[94:95], v[14:15]
	v_add_f64_e64 v[94:95], v[94:95], -v[14:15]
	v_add_f64_e32 v[92:93], v[90:91], v[10:11]
	v_add_f64_e64 v[90:91], v[90:91], -v[10:11]
	v_mul_f64_e32 v[246:247], s[36:37], v[104:105]
	v_fma_f64 v[50:51], v[96:97], s[18:19], v[48:49]
	v_fma_f64 v[54:55], v[100:101], s[2:3], v[52:53]
	v_add_f64_e32 v[12:13], v[12:13], v[130:131]
	v_add_f64_e64 v[130:131], v[88:89], -v[8:9]
	v_add_f64_e32 v[14:15], v[14:15], v[132:133]
	v_add_f64_e32 v[88:89], v[88:89], v[8:9]
	v_add_f64_e64 v[132:133], v[86:87], -v[6:7]
	v_add_f64_e32 v[86:87], v[6:7], v[86:87]
	v_mul_f64_e32 v[46:47], s[30:31], v[106:107]
	v_mul_f64_e32 v[140:141], s[24:25], v[90:91]
	;; [unrolled: 1-line block ×6, first 2 shown]
	v_add_f64_e32 v[8:9], v[8:9], v[12:13]
	v_add_f64_e32 v[12:13], v[2:3], v[82:83]
	;; [unrolled: 1-line block ×4, first 2 shown]
	v_mul_f64_e32 v[252:253], s[24:25], v[130:131]
	v_mul_f64_e32 v[40:41], s[30:31], v[132:133]
	v_add_f64_e32 v[4:5], v[4:5], v[8:9]
	v_add_f64_e64 v[8:9], v[80:81], -v[0:1]
	v_add_f64_e32 v[6:7], v[6:7], v[10:11]
	v_add_f64_e64 v[10:11], v[82:83], -v[2:3]
	v_fma_f64 v[42:43], v[84:85], s[0:1], v[40:41]
	v_fma_f64 v[40:41], v[84:85], s[0:1], -v[40:41]
	v_add_f64_e32 v[0:1], v[0:1], v[4:5]
	v_mul_f64_e32 v[80:81], s[24:25], v[8:9]
	v_add_f64_e32 v[2:3], v[2:3], v[6:7]
	v_mul_f64_e32 v[166:167], s[24:25], v[10:11]
	v_mul_f64_e32 v[82:83], s[46:47], v[8:9]
	;; [unrolled: 1-line block ×13, first 2 shown]
	v_fma_f64 v[152:153], v[12:13], s[8:9], v[80:81]
	v_fma_f64 v[80:81], v[12:13], s[8:9], -v[80:81]
	scratch_store_b128 off, v[0:3], off offset:80 ; 16-byte Folded Spill
	v_fma_f64 v[180:181], v[14:15], s[8:9], -v[166:167]
	v_fma_f64 v[166:167], v[14:15], s[8:9], v[166:167]
	v_fma_f64 v[154:155], v[12:13], s[10:11], v[82:83]
	v_fma_f64 v[182:183], v[14:15], s[10:11], -v[168:169]
	v_fma_f64 v[156:157], v[12:13], s[16:17], v[142:143]
	v_fma_f64 v[184:185], v[14:15], s[16:17], -v[170:171]
	v_fma_f64 v[158:159], v[12:13], s[18:19], -v[144:145]
	v_fma_f64 v[144:145], v[12:13], s[18:19], v[144:145]
	v_fma_f64 v[160:161], v[12:13], s[20:21], -v[146:147]
	v_fma_f64 v[146:147], v[12:13], s[20:21], v[146:147]
	v_fma_f64 v[188:189], v[14:15], s[20:21], v[174:175]
	v_fma_f64 v[174:175], v[14:15], s[20:21], -v[174:175]
	v_fma_f64 v[148:149], v[12:13], s[0:1], v[4:5]
	v_fma_f64 v[4:5], v[12:13], s[0:1], -v[4:5]
	;; [unrolled: 2-line block ×3, first 2 shown]
	v_fma_f64 v[82:83], v[12:13], s[10:11], -v[82:83]
	v_fma_f64 v[142:143], v[12:13], s[16:17], -v[142:143]
	;; [unrolled: 1-line block ×3, first 2 shown]
	v_fma_f64 v[8:9], v[12:13], s[22:23], v[8:9]
	v_mul_f64_e32 v[12:13], s[30:31], v[10:11]
	v_mul_f64_e32 v[10:11], s[28:29], v[10:11]
	v_fma_f64 v[178:179], v[14:15], s[2:3], -v[164:165]
	v_fma_f64 v[164:165], v[14:15], s[2:3], v[164:165]
	v_fma_f64 v[168:169], v[14:15], s[10:11], v[168:169]
	;; [unrolled: 1-line block ×4, first 2 shown]
	v_fma_f64 v[172:173], v[14:15], s[18:19], -v[172:173]
	v_add_f64_e32 v[152:153], v[78:79], v[152:153]
	v_add_f64_e32 v[0:1], v[78:79], v[80:81]
	;; [unrolled: 1-line block ×6, first 2 shown]
	v_fma_f64 v[176:177], v[14:15], s[0:1], -v[12:13]
	v_fma_f64 v[12:13], v[14:15], s[0:1], v[12:13]
	v_fma_f64 v[190:191], v[14:15], s[22:23], v[10:11]
	v_fma_f64 v[10:11], v[14:15], s[22:23], -v[10:11]
	v_add_f64_e32 v[14:15], v[78:79], v[148:149]
	v_add_f64_e32 v[178:179], v[76:77], v[178:179]
	;; [unrolled: 1-line block ×7, first 2 shown]
	v_mul_f64_e32 v[186:187], s[52:53], v[106:107]
	scratch_store_b64 off, v[0:1], off offset:256 ; 8-byte Folded Spill
	v_add_f64_e32 v[0:1], v[76:77], v[166:167]
	v_add_f64_e32 v[166:167], v[78:79], v[82:83]
	;; [unrolled: 1-line block ×7, first 2 shown]
	v_mul_f64_e32 v[170:171], s[52:53], v[130:131]
	scratch_store_b64 off, v[0:1], off offset:248 ; 8-byte Folded Spill
	v_add_f64_e32 v[0:1], v[78:79], v[154:155]
	v_add_f64_e32 v[154:155], v[78:79], v[160:161]
	;; [unrolled: 1-line block ×3, first 2 shown]
	scratch_store_b64 off, v[0:1], off offset:224 ; 8-byte Folded Spill
	v_add_f64_e32 v[0:1], v[76:77], v[182:183]
	scratch_store_b64 off, v[0:1], off offset:216 ; 8-byte Folded Spill
	v_add_f64_e32 v[0:1], v[78:79], v[156:157]
	v_add_f64_e32 v[156:157], v[78:79], v[162:163]
	;; [unrolled: 1-line block ×3, first 2 shown]
	scratch_store_b64 off, v[0:1], off offset:192 ; 8-byte Folded Spill
	v_add_f64_e32 v[0:1], v[76:77], v[184:185]
	v_dual_mov_b32 v182, v215 :: v_dual_mov_b32 v183, v216
	v_dual_mov_b32 v184, v217 :: v_dual_mov_b32 v185, v218
	v_mul_f64_e32 v[214:215], s[26:27], v[122:123]
	v_mul_f64_e32 v[216:217], s[44:45], v[126:127]
	;; [unrolled: 1-line block ×3, first 2 shown]
	scratch_store_b64 off, v[0:1], off offset:184 ; 8-byte Folded Spill
	v_add_f64_e32 v[0:1], v[78:79], v[144:145]
	scratch_store_b64 off, v[0:1], off offset:176 ; 8-byte Folded Spill
	v_add_f64_e32 v[0:1], v[78:79], v[146:147]
	;; [unrolled: 2-line block ×4, first 2 shown]
	v_mul_f64_e32 v[8:9], s[40:41], v[134:135]
	v_fma_f64 v[78:79], v[112:113], s[18:19], v[34:35]
	scratch_store_b64 off, v[0:1], off offset:136 ; 8-byte Folded Spill
	v_fma_f64 v[4:5], v[86:87], s[22:23], v[8:9]
	v_add_f64_e32 v[0:1], v[76:77], v[10:11]
	v_mul_f64_e32 v[10:11], s[40:41], v[132:133]
	v_fma_f64 v[8:9], v[86:87], s[22:23], -v[8:9]
	v_mul_f64_e32 v[76:77], s[42:43], v[134:135]
	v_add_f64_e32 v[4:5], v[4:5], v[14:15]
	v_mul_f64_e32 v[14:15], s[38:39], v[130:131]
	v_fma_f64 v[6:7], v[84:85], s[22:23], -v[10:11]
	v_fma_f64 v[10:11], v[84:85], s[22:23], v[10:11]
	v_add_f64_e32 v[8:9], v[8:9], v[176:177]
	scratch_store_b64 off, v[0:1], off offset:128 ; 8-byte Folded Spill
	v_fma_f64 v[142:143], v[92:93], s[2:3], v[14:15]
	v_add_f64_e32 v[6:7], v[6:7], v[148:149]
	v_add_f64_e32 v[10:11], v[10:11], v[12:13]
	v_fma_f64 v[12:13], v[92:93], s[2:3], -v[14:15]
	v_fma_f64 v[14:15], v[120:121], s[16:17], v[214:215]
	v_add_f64_e32 v[4:5], v[142:143], v[4:5]
	v_mul_f64_e32 v[142:143], s[38:39], v[90:91]
	s_delay_alu instid0(VALU_DEP_4) | instskip(NEXT) | instid1(VALU_DEP_2)
	v_add_f64_e32 v[8:9], v[12:13], v[8:9]
	v_fma_f64 v[144:145], v[88:89], s[2:3], -v[142:143]
	v_fma_f64 v[12:13], v[88:89], s[2:3], v[142:143]
	v_mul_f64_e32 v[142:143], s[44:45], v[134:135]
	s_delay_alu instid0(VALU_DEP_3) | instskip(SKIP_1) | instid1(VALU_DEP_4)
	v_add_f64_e32 v[6:7], v[144:145], v[6:7]
	v_mul_f64_e32 v[144:145], s[34:35], v[106:107]
	v_add_f64_e32 v[10:11], v[12:13], v[10:11]
	s_delay_alu instid0(VALU_DEP_2) | instskip(SKIP_2) | instid1(VALU_DEP_3)
	v_fma_f64 v[146:147], v[18:19], s[20:21], v[144:145]
	v_fma_f64 v[12:13], v[18:19], s[20:21], -v[144:145]
	v_mul_f64_e32 v[144:145], s[44:45], v[132:133]
	v_add_f64_e32 v[4:5], v[146:147], v[4:5]
	v_mul_f64_e32 v[146:147], s[34:35], v[94:95]
	s_delay_alu instid0(VALU_DEP_4) | instskip(NEXT) | instid1(VALU_DEP_2)
	v_add_f64_e32 v[8:9], v[12:13], v[8:9]
	v_fma_f64 v[148:149], v[16:17], s[20:21], -v[146:147]
	v_fma_f64 v[12:13], v[16:17], s[20:21], v[146:147]
	v_mul_f64_e32 v[146:147], s[42:43], v[130:131]
	s_delay_alu instid0(VALU_DEP_3) | instskip(SKIP_1) | instid1(VALU_DEP_4)
	v_add_f64_e32 v[6:7], v[148:149], v[6:7]
	v_mul_f64_e32 v[148:149], s[24:25], v[104:105]
	v_add_f64_e32 v[10:11], v[12:13], v[10:11]
	s_delay_alu instid0(VALU_DEP_2) | instskip(SKIP_3) | instid1(VALU_DEP_4)
	v_fma_f64 v[174:175], v[102:103], s[8:9], v[148:149]
	v_fma_f64 v[12:13], v[102:103], s[8:9], -v[148:149]
	v_fma_f64 v[148:149], v[92:93], s[16:17], v[146:147]
	v_fma_f64 v[146:147], v[92:93], s[16:17], -v[146:147]
	v_add_f64_e32 v[4:5], v[174:175], v[4:5]
	v_mul_f64_e32 v[174:175], s[24:25], v[98:99]
	v_add_f64_e32 v[8:9], v[12:13], v[8:9]
	s_delay_alu instid0(VALU_DEP_2) | instskip(SKIP_1) | instid1(VALU_DEP_2)
	v_fma_f64 v[190:191], v[96:97], s[8:9], -v[174:175]
	v_fma_f64 v[12:13], v[96:97], s[8:9], v[174:175]
	v_add_f64_e32 v[6:7], v[190:191], v[6:7]
	v_mul_f64_e32 v[190:191], s[44:45], v[110:111]
	s_delay_alu instid0(VALU_DEP_3) | instskip(NEXT) | instid1(VALU_DEP_2)
	v_add_f64_e32 v[10:11], v[12:13], v[10:11]
	v_fma_f64 v[204:205], v[108:109], s[18:19], v[190:191]
	v_fma_f64 v[12:13], v[108:109], s[18:19], -v[190:191]
	s_delay_alu instid0(VALU_DEP_2) | instskip(SKIP_1) | instid1(VALU_DEP_3)
	v_add_f64_e32 v[4:5], v[204:205], v[4:5]
	v_mul_f64_e32 v[204:205], s[44:45], v[128:129]
	v_add_f64_e32 v[8:9], v[12:13], v[8:9]
	s_delay_alu instid0(VALU_DEP_2) | instskip(SKIP_1) | instid1(VALU_DEP_2)
	v_fma_f64 v[206:207], v[100:101], s[18:19], -v[204:205]
	v_fma_f64 v[12:13], v[100:101], s[18:19], v[204:205]
	v_add_f64_e32 v[6:7], v[206:207], v[6:7]
	v_mul_f64_e32 v[206:207], s[46:47], v[118:119]
	s_delay_alu instid0(VALU_DEP_3) | instskip(NEXT) | instid1(VALU_DEP_2)
	v_add_f64_e32 v[10:11], v[12:13], v[10:11]
	v_fma_f64 v[208:209], v[116:117], s[10:11], v[206:207]
	v_fma_f64 v[12:13], v[116:117], s[10:11], -v[206:207]
	s_delay_alu instid0(VALU_DEP_2) | instskip(SKIP_1) | instid1(VALU_DEP_3)
	v_add_f64_e32 v[4:5], v[208:209], v[4:5]
	v_mul_f64_e32 v[208:209], s[46:47], v[114:115]
	v_add_f64_e32 v[8:9], v[12:13], v[8:9]
	s_delay_alu instid0(VALU_DEP_2) | instskip(SKIP_1) | instid1(VALU_DEP_2)
	v_fma_f64 v[210:211], v[112:113], s[10:11], -v[208:209]
	v_fma_f64 v[12:13], v[112:113], s[10:11], v[208:209]
	v_add_f64_e32 v[210:211], v[210:211], v[6:7]
	v_fma_f64 v[6:7], v[124:125], s[16:17], v[212:213]
	s_delay_alu instid0(VALU_DEP_3) | instskip(SKIP_2) | instid1(VALU_DEP_4)
	v_add_f64_e32 v[12:13], v[12:13], v[10:11]
	v_fma_f64 v[10:11], v[124:125], s[16:17], -v[212:213]
	v_mul_f64_e32 v[212:213], s[46:47], v[126:127]
	v_add_f64_e32 v[2:3], v[6:7], v[4:5]
	v_fma_f64 v[4:5], v[120:121], s[16:17], -v[214:215]
	v_mul_f64_e32 v[214:215], s[46:47], v[122:123]
	s_delay_alu instid0(VALU_DEP_2)
	v_add_f64_e32 v[0:1], v[4:5], v[210:211]
	v_mul_f64_e32 v[4:5], s[24:25], v[132:133]
	scratch_store_b128 off, v[0:3], off offset:96 ; 16-byte Folded Spill
	v_add_f64_e32 v[0:1], v[14:15], v[12:13]
	v_fma_f64 v[12:13], v[86:87], s[18:19], v[142:143]
	v_fma_f64 v[14:15], v[84:85], s[18:19], -v[144:145]
	v_fma_f64 v[142:143], v[86:87], s[18:19], -v[142:143]
	v_fma_f64 v[144:145], v[84:85], s[18:19], v[144:145]
	v_add_f64_e32 v[2:3], v[10:11], v[8:9]
	v_mul_f64_e32 v[8:9], s[52:53], v[110:111]
	v_add_f64_e32 v[12:13], v[12:13], v[150:151]
	v_add_f64_e32 v[14:15], v[14:15], v[178:179]
	;; [unrolled: 1-line block ×4, first 2 shown]
	scratch_store_b128 off, v[0:3], off offset:112 ; 16-byte Folded Spill
	v_mul_f64_e32 v[192:193], s[38:39], v[94:95]
	v_fma_f64 v[10:11], v[108:109], s[10:11], -v[8:9]
	v_add_f64_e32 v[12:13], v[148:149], v[12:13]
	v_mul_f64_e32 v[148:149], s[42:43], v[90:91]
	v_add_f64_e32 v[142:143], v[146:147], v[142:143]
	s_delay_alu instid0(VALU_DEP_2) | instskip(SKIP_2) | instid1(VALU_DEP_3)
	v_fma_f64 v[150:151], v[88:89], s[16:17], -v[148:149]
	v_fma_f64 v[146:147], v[88:89], s[16:17], v[148:149]
	v_fma_f64 v[148:149], v[120:121], s[10:11], v[214:215]
	v_add_f64_e32 v[14:15], v[150:151], v[14:15]
	v_mul_f64_e32 v[150:151], s[50:51], v[106:107]
	s_delay_alu instid0(VALU_DEP_4) | instskip(NEXT) | instid1(VALU_DEP_2)
	v_add_f64_e32 v[144:145], v[146:147], v[144:145]
	v_fma_f64 v[174:175], v[18:19], s[8:9], v[150:151]
	v_fma_f64 v[146:147], v[18:19], s[8:9], -v[150:151]
	s_delay_alu instid0(VALU_DEP_2) | instskip(SKIP_1) | instid1(VALU_DEP_3)
	v_add_f64_e32 v[12:13], v[174:175], v[12:13]
	v_mul_f64_e32 v[174:175], s[50:51], v[94:95]
	v_add_f64_e32 v[142:143], v[146:147], v[142:143]
	s_delay_alu instid0(VALU_DEP_2) | instskip(SKIP_2) | instid1(VALU_DEP_3)
	v_fma_f64 v[176:177], v[16:17], s[8:9], -v[174:175]
	v_fma_f64 v[146:147], v[16:17], s[8:9], v[174:175]
	v_mul_f64_e32 v[174:175], s[52:53], v[134:135]
	v_add_f64_e32 v[14:15], v[176:177], v[14:15]
	v_mul_f64_e32 v[176:177], s[28:29], v[104:105]
	s_delay_alu instid0(VALU_DEP_4) | instskip(NEXT) | instid1(VALU_DEP_2)
	v_add_f64_e32 v[144:145], v[146:147], v[144:145]
	v_fma_f64 v[178:179], v[102:103], s[22:23], v[176:177]
	v_fma_f64 v[146:147], v[102:103], s[22:23], -v[176:177]
	v_mul_f64_e32 v[176:177], s[52:53], v[132:133]
	s_delay_alu instid0(VALU_DEP_3) | instskip(SKIP_1) | instid1(VALU_DEP_4)
	v_add_f64_e32 v[12:13], v[178:179], v[12:13]
	v_mul_f64_e32 v[178:179], s[28:29], v[98:99]
	v_add_f64_e32 v[142:143], v[146:147], v[142:143]
	s_delay_alu instid0(VALU_DEP_2) | instskip(SKIP_2) | instid1(VALU_DEP_3)
	v_fma_f64 v[190:191], v[96:97], s[22:23], -v[178:179]
	v_fma_f64 v[146:147], v[96:97], s[22:23], v[178:179]
	v_mul_f64_e32 v[178:179], s[28:29], v[130:131]
	v_add_f64_e32 v[14:15], v[190:191], v[14:15]
	v_mul_f64_e32 v[190:191], s[30:31], v[110:111]
	s_delay_alu instid0(VALU_DEP_4) | instskip(NEXT) | instid1(VALU_DEP_4)
	v_add_f64_e32 v[144:145], v[146:147], v[144:145]
	v_fma_f64 v[150:151], v[92:93], s[22:23], v[178:179]
	s_delay_alu instid0(VALU_DEP_3) | instskip(SKIP_2) | instid1(VALU_DEP_3)
	v_fma_f64 v[204:205], v[108:109], s[0:1], v[190:191]
	v_fma_f64 v[146:147], v[108:109], s[0:1], -v[190:191]
	v_mul_f64_e32 v[190:191], s[38:39], v[106:107]
	v_add_f64_e32 v[12:13], v[204:205], v[12:13]
	v_mul_f64_e32 v[204:205], s[30:31], v[128:129]
	s_delay_alu instid0(VALU_DEP_4) | instskip(NEXT) | instid1(VALU_DEP_2)
	v_add_f64_e32 v[142:143], v[146:147], v[142:143]
	v_fma_f64 v[206:207], v[100:101], s[0:1], -v[204:205]
	v_fma_f64 v[146:147], v[100:101], s[0:1], v[204:205]
	v_mul_f64_e32 v[204:205], s[26:27], v[104:105]
	s_delay_alu instid0(VALU_DEP_3) | instskip(SKIP_1) | instid1(VALU_DEP_4)
	v_add_f64_e32 v[14:15], v[206:207], v[14:15]
	v_mul_f64_e32 v[206:207], s[34:35], v[118:119]
	v_add_f64_e32 v[144:145], v[146:147], v[144:145]
	s_delay_alu instid0(VALU_DEP_2) | instskip(SKIP_2) | instid1(VALU_DEP_3)
	v_fma_f64 v[208:209], v[116:117], s[20:21], v[206:207]
	v_fma_f64 v[146:147], v[116:117], s[20:21], -v[206:207]
	v_mul_f64_e32 v[206:207], s[26:27], v[98:99]
	v_add_f64_e32 v[12:13], v[208:209], v[12:13]
	v_mul_f64_e32 v[208:209], s[34:35], v[114:115]
	s_delay_alu instid0(VALU_DEP_4) | instskip(NEXT) | instid1(VALU_DEP_2)
	v_add_f64_e32 v[142:143], v[146:147], v[142:143]
	v_fma_f64 v[210:211], v[112:113], s[20:21], -v[208:209]
	v_fma_f64 v[146:147], v[112:113], s[20:21], v[208:209]
	v_mul_f64_e32 v[208:209], s[48:49], v[110:111]
	s_delay_alu instid0(VALU_DEP_3) | instskip(SKIP_1) | instid1(VALU_DEP_4)
	v_add_f64_e32 v[210:211], v[210:211], v[14:15]
	v_fma_f64 v[14:15], v[124:125], s[10:11], v[212:213]
	v_add_f64_e32 v[146:147], v[146:147], v[144:145]
	v_fma_f64 v[144:145], v[124:125], s[10:11], -v[212:213]
	v_mul_f64_e32 v[212:213], s[30:31], v[118:119]
	s_delay_alu instid0(VALU_DEP_4) | instskip(SKIP_2) | instid1(VALU_DEP_2)
	v_add_f64_e32 v[2:3], v[14:15], v[12:13]
	v_fma_f64 v[12:13], v[120:121], s[10:11], -v[214:215]
	v_mul_f64_e32 v[214:215], s[30:31], v[114:115]
	v_add_f64_e32 v[0:1], v[12:13], v[210:211]
	v_mul_f64_e32 v[210:211], s[48:49], v[128:129]
	v_mul_f64_e32 v[12:13], s[52:53], v[128:129]
	scratch_store_b128 off, v[0:3], off offset:160 ; 16-byte Folded Spill
	v_add_f64_e32 v[0:1], v[148:149], v[146:147]
	v_fma_f64 v[146:147], v[86:87], s[10:11], v[174:175]
	v_fma_f64 v[148:149], v[84:85], s[10:11], -v[176:177]
	v_add_f64_e32 v[2:3], v[144:145], v[142:143]
	v_mul_f64_e32 v[144:145], s[38:39], v[118:119]
	v_mul_f64_e32 v[142:143], s[30:31], v[122:123]
	v_fma_f64 v[14:15], v[100:101], s[10:11], v[12:13]
	v_add_f64_e32 v[146:147], v[146:147], v[152:153]
	v_add_f64_e32 v[148:149], v[148:149], v[180:181]
	v_mul_f64_e32 v[180:181], s[28:29], v[90:91]
	scratch_store_b128 off, v[0:3], off offset:200 ; 16-byte Folded Spill
	v_add_f64_e32 v[146:147], v[150:151], v[146:147]
	v_fma_f64 v[150:151], v[88:89], s[22:23], -v[180:181]
	s_delay_alu instid0(VALU_DEP_1) | instskip(SKIP_1) | instid1(VALU_DEP_1)
	v_add_f64_e32 v[148:149], v[150:151], v[148:149]
	v_fma_f64 v[150:151], v[18:19], s[2:3], v[190:191]
	v_add_f64_e32 v[146:147], v[150:151], v[146:147]
	v_fma_f64 v[150:151], v[16:17], s[2:3], -v[192:193]
	s_delay_alu instid0(VALU_DEP_1) | instskip(SKIP_1) | instid1(VALU_DEP_1)
	v_add_f64_e32 v[148:149], v[150:151], v[148:149]
	v_fma_f64 v[150:151], v[102:103], s[16:17], v[204:205]
	v_add_f64_e32 v[146:147], v[150:151], v[146:147]
	v_fma_f64 v[150:151], v[96:97], s[16:17], -v[206:207]
	s_delay_alu instid0(VALU_DEP_1) | instskip(SKIP_1) | instid1(VALU_DEP_1)
	v_add_f64_e32 v[148:149], v[150:151], v[148:149]
	v_fma_f64 v[150:151], v[108:109], s[20:21], v[208:209]
	v_add_f64_e32 v[146:147], v[150:151], v[146:147]
	v_fma_f64 v[150:151], v[100:101], s[20:21], -v[210:211]
	s_delay_alu instid0(VALU_DEP_1) | instskip(SKIP_1) | instid1(VALU_DEP_1)
	v_add_f64_e32 v[148:149], v[150:151], v[148:149]
	v_fma_f64 v[150:151], v[116:117], s[0:1], v[212:213]
	v_add_f64_e32 v[146:147], v[150:151], v[146:147]
	v_fma_f64 v[150:151], v[112:113], s[0:1], -v[214:215]
	s_delay_alu instid0(VALU_DEP_1) | instskip(SKIP_1) | instid1(VALU_DEP_1)
	v_add_f64_e32 v[150:151], v[150:151], v[148:149]
	v_fma_f64 v[148:149], v[124:125], s[18:19], v[216:217]
	v_add_f64_e32 v[2:3], v[148:149], v[146:147]
	v_fma_f64 v[146:147], v[120:121], s[18:19], -v[218:219]
	v_mul_f64_e32 v[148:149], s[52:53], v[94:95]
	s_delay_alu instid0(VALU_DEP_2)
	v_add_f64_e32 v[0:1], v[146:147], v[150:151]
	v_mul_f64_e32 v[146:147], s[42:43], v[132:133]
	scratch_store_b128 off, v[0:3], off offset:232 ; 16-byte Folded Spill
	v_mul_f64_e32 v[0:1], s[48:49], v[134:135]
	scratch_store_b64 off, v[0:1], off offset:264 ; 8-byte Folded Spill
	v_fma_f64 v[150:151], v[86:87], s[20:21], -v[0:1]
	v_mul_f64_e32 v[0:1], s[48:49], v[132:133]
	s_delay_alu instid0(VALU_DEP_2) | instskip(SKIP_3) | instid1(VALU_DEP_2)
	v_add_f64_e32 v[150:151], v[150:151], v[156:157]
	scratch_store_b64 off, v[0:1], off offset:272 ; 8-byte Folded Spill
	v_fma_f64 v[152:153], v[84:85], s[20:21], v[0:1]
	v_mul_f64_e32 v[0:1], s[36:37], v[130:131]
	v_add_f64_e32 v[152:153], v[152:153], v[160:161]
	scratch_store_b64 off, v[0:1], off offset:280 ; 8-byte Folded Spill
	v_fma_f64 v[156:157], v[92:93], s[18:19], -v[0:1]
	v_mul_f64_e32 v[0:1], s[36:37], v[90:91]
	v_fma_f64 v[160:161], v[92:93], s[8:9], -v[252:253]
	s_delay_alu instid0(VALU_DEP_3) | instskip(SKIP_3) | instid1(VALU_DEP_2)
	v_add_f64_e32 v[150:151], v[156:157], v[150:151]
	scratch_store_b64 off, v[0:1], off offset:288 ; 8-byte Folded Spill
	v_fma_f64 v[156:157], v[88:89], s[18:19], v[0:1]
	v_mul_f64_e32 v[0:1], s[42:43], v[106:107]
	v_add_f64_e32 v[152:153], v[156:157], v[152:153]
	scratch_store_b64 off, v[0:1], off offset:296 ; 8-byte Folded Spill
	v_fma_f64 v[156:157], v[18:19], s[16:17], -v[0:1]
	v_mul_f64_e32 v[0:1], s[42:43], v[94:95]
	v_mul_f64_e32 v[94:95], s[36:37], v[94:95]
	s_delay_alu instid0(VALU_DEP_3) | instskip(SKIP_3) | instid1(VALU_DEP_2)
	v_add_f64_e32 v[150:151], v[156:157], v[150:151]
	scratch_store_b64 off, v[0:1], off offset:304 ; 8-byte Folded Spill
	v_fma_f64 v[156:157], v[16:17], s[16:17], v[0:1]
	v_mul_f64_e32 v[0:1], s[46:47], v[104:105]
	v_add_f64_e32 v[152:153], v[156:157], v[152:153]
	scratch_store_b64 off, v[0:1], off offset:312 ; 8-byte Folded Spill
	v_fma_f64 v[156:157], v[102:103], s[10:11], -v[0:1]
	v_mul_f64_e32 v[0:1], s[46:47], v[98:99]
	s_mov_b32 s47, 0x3fe0d888
	s_mov_b32 s46, s38
	s_wait_alu 0xfffe
	v_mul_f64_e32 v[220:221], s[46:47], v[98:99]
	v_mul_f64_e32 v[32:33], s[46:47], v[104:105]
	;; [unrolled: 1-line block ×4, first 2 shown]
	v_add_f64_e32 v[150:151], v[156:157], v[150:151]
	v_fma_f64 v[156:157], v[96:97], s[10:11], v[0:1]
	scratch_store_b64 off, v[0:1], off offset:320 ; 8-byte Folded Spill
	v_mul_f64_e32 v[0:1], s[24:25], v[128:129]
	v_fma_f64 v[6:7], v[96:97], s[2:3], v[220:221]
	v_add_f64_e32 v[152:153], v[156:157], v[152:153]
	v_fma_f64 v[156:157], v[108:109], s[8:9], -v[198:199]
	scratch_store_b64 off, v[0:1], off offset:328 ; 8-byte Folded Spill
	v_add_f64_e32 v[150:151], v[156:157], v[150:151]
	v_fma_f64 v[156:157], v[100:101], s[8:9], v[0:1]
	v_mul_f64_e32 v[0:1], s[38:39], v[114:115]
	v_mul_f64_e32 v[114:115], s[28:29], v[114:115]
	s_delay_alu instid0(VALU_DEP_3)
	v_add_f64_e32 v[152:153], v[156:157], v[152:153]
	v_fma_f64 v[156:157], v[116:117], s[2:3], -v[144:145]
	scratch_store_b64 off, v[0:1], off offset:336 ; 8-byte Folded Spill
	v_add_f64_e32 v[150:151], v[156:157], v[150:151]
	v_fma_f64 v[156:157], v[112:113], s[2:3], v[0:1]
	v_mul_f64_e32 v[0:1], s[30:31], v[126:127]
	s_delay_alu instid0(VALU_DEP_2) | instskip(NEXT) | instid1(VALU_DEP_2)
	v_add_f64_e32 v[156:157], v[156:157], v[152:153]
	v_fma_f64 v[152:153], v[124:125], s[0:1], -v[0:1]
	scratch_store_b64 off, v[0:1], off offset:344 ; 8-byte Folded Spill
	v_mul_f64_e32 v[0:1], s[34:35], v[104:105]
	v_add_f64_e32 v[152:153], v[152:153], v[150:151]
	v_fma_f64 v[150:151], v[120:121], s[0:1], v[142:143]
	s_delay_alu instid0(VALU_DEP_1) | instskip(SKIP_1) | instid1(VALU_DEP_1)
	v_add_f64_e32 v[150:151], v[150:151], v[156:157]
	v_fma_f64 v[156:157], v[86:87], s[16:17], -v[76:77]
	v_add_f64_e32 v[154:155], v[156:157], v[154:155]
	v_fma_f64 v[156:157], v[84:85], s[16:17], v[146:147]
	s_delay_alu instid0(VALU_DEP_2) | instskip(NEXT) | instid1(VALU_DEP_2)
	v_add_f64_e32 v[154:155], v[160:161], v[154:155]
	v_add_f64_e32 v[156:157], v[156:157], v[162:163]
	v_fma_f64 v[160:161], v[88:89], s[8:9], v[140:141]
	s_delay_alu instid0(VALU_DEP_1) | instskip(SKIP_1) | instid1(VALU_DEP_1)
	v_add_f64_e32 v[156:157], v[160:161], v[156:157]
	v_fma_f64 v[160:161], v[18:19], s[0:1], -v[46:47]
	v_add_f64_e32 v[154:155], v[160:161], v[154:155]
	v_fma_f64 v[160:161], v[16:17], s[0:1], v[254:255]
	s_delay_alu instid0(VALU_DEP_1) | instskip(SKIP_2) | instid1(VALU_DEP_3)
	v_add_f64_e32 v[156:157], v[160:161], v[156:157]
	v_fma_f64 v[160:161], v[102:103], s[2:3], -v[32:33]
	v_fma_f64 v[32:33], v[102:103], s[2:3], v[32:33]
	v_add_f64_e32 v[6:7], v[6:7], v[156:157]
	s_delay_alu instid0(VALU_DEP_3) | instskip(NEXT) | instid1(VALU_DEP_2)
	v_add_f64_e32 v[154:155], v[160:161], v[154:155]
	v_add_f64_e32 v[6:7], v[14:15], v[6:7]
	v_mul_f64_e32 v[14:15], s[44:45], v[118:119]
	s_delay_alu instid0(VALU_DEP_3)
	v_add_f64_e32 v[10:11], v[10:11], v[154:155]
	s_mov_b32 s45, 0x3fc7851a
	s_mov_b32 s44, s30
	s_wait_alu 0xfffe
	v_mul_f64_e32 v[188:189], s[44:45], v[130:131]
	v_mul_f64_e32 v[2:3], s[44:45], v[90:91]
	;; [unrolled: 1-line block ×4, first 2 shown]
	v_add_f64_e32 v[6:7], v[78:79], v[6:7]
	v_fma_f64 v[154:155], v[116:117], s[18:19], -v[14:15]
	v_mul_f64_e32 v[78:79], s[40:41], v[126:127]
	v_fma_f64 v[14:15], v[116:117], s[18:19], v[14:15]
	s_delay_alu instid0(VALU_DEP_3) | instskip(NEXT) | instid1(VALU_DEP_3)
	v_add_f64_e32 v[10:11], v[154:155], v[10:11]
	v_fma_f64 v[154:155], v[124:125], s[22:23], -v[78:79]
	s_delay_alu instid0(VALU_DEP_1) | instskip(SKIP_1) | instid1(VALU_DEP_1)
	v_add_f64_e32 v[156:157], v[154:155], v[10:11]
	v_mul_f64_e32 v[10:11], s[40:41], v[122:123]
	v_fma_f64 v[154:155], v[120:121], s[22:23], v[10:11]
	v_fma_f64 v[10:11], v[120:121], s[22:23], -v[10:11]
	s_delay_alu instid0(VALU_DEP_2) | instskip(SKIP_1) | instid1(VALU_DEP_1)
	v_add_f64_e32 v[154:155], v[154:155], v[6:7]
	v_mul_f64_e32 v[6:7], s[24:25], v[134:135]
	v_fma_f64 v[160:161], v[86:87], s[8:9], -v[6:7]
	v_fma_f64 v[6:7], v[86:87], s[8:9], v[6:7]
	s_delay_alu instid0(VALU_DEP_2) | instskip(SKIP_1) | instid1(VALU_DEP_1)
	v_add_f64_e32 v[158:159], v[160:161], v[158:159]
	v_fma_f64 v[160:161], v[84:85], s[8:9], v[4:5]
	v_add_f64_e32 v[80:81], v[160:161], v[80:81]
	v_fma_f64 v[160:161], v[92:93], s[0:1], -v[188:189]
	s_delay_alu instid0(VALU_DEP_1) | instskip(SKIP_1) | instid1(VALU_DEP_1)
	v_add_f64_e32 v[158:159], v[160:161], v[158:159]
	v_fma_f64 v[160:161], v[88:89], s[0:1], v[2:3]
	v_add_f64_e32 v[80:81], v[160:161], v[80:81]
	v_fma_f64 v[160:161], v[18:19], s[10:11], -v[186:187]
	s_delay_alu instid0(VALU_DEP_1) | instskip(SKIP_1) | instid1(VALU_DEP_1)
	;; [unrolled: 5-line block ×5, first 2 shown]
	v_add_f64_e32 v[158:159], v[160:161], v[158:159]
	v_fma_f64 v[160:161], v[112:113], s[16:17], v[240:241]
	v_add_f64_e32 v[80:81], v[160:161], v[80:81]
	s_delay_alu instid0(VALU_DEP_3) | instskip(SKIP_1) | instid1(VALU_DEP_1)
	v_add_f64_e32 v[160:161], v[38:39], v[158:159]
	v_mul_f64_e32 v[38:39], s[38:39], v[122:123]
	v_fma_f64 v[158:159], v[120:121], s[2:3], v[38:39]
	v_fma_f64 v[38:39], v[120:121], s[2:3], -v[38:39]
	s_delay_alu instid0(VALU_DEP_2) | instskip(SKIP_1) | instid1(VALU_DEP_1)
	v_add_f64_e32 v[158:159], v[158:159], v[80:81]
	v_mul_f64_e32 v[80:81], s[30:31], v[134:135]
	v_fma_f64 v[162:163], v[86:87], s[0:1], -v[80:81]
	s_delay_alu instid0(VALU_DEP_1) | instskip(SKIP_1) | instid1(VALU_DEP_1)
	v_add_f64_e32 v[82:83], v[162:163], v[82:83]
	v_fma_f64 v[162:163], v[92:93], s[10:11], -v[170:171]
	v_add_f64_e32 v[82:83], v[162:163], v[82:83]
	v_fma_f64 v[162:163], v[88:89], s[10:11], v[44:45]
	v_fma_f64 v[44:45], v[88:89], s[10:11], -v[44:45]
	s_delay_alu instid0(VALU_DEP_2) | instskip(SKIP_1) | instid1(VALU_DEP_1)
	v_add_f64_e32 v[42:43], v[162:163], v[42:43]
	v_fma_f64 v[162:163], v[18:19], s[22:23], -v[242:243]
	v_add_f64_e32 v[82:83], v[162:163], v[82:83]
	v_fma_f64 v[162:163], v[16:17], s[22:23], v[244:245]
	s_delay_alu instid0(VALU_DEP_1) | instskip(SKIP_1) | instid1(VALU_DEP_2)
	v_add_f64_e32 v[42:43], v[162:163], v[42:43]
	v_fma_f64 v[162:163], v[102:103], s[18:19], -v[246:247]
	v_add_f64_e32 v[42:43], v[50:51], v[42:43]
	v_mul_f64_e32 v[50:51], s[38:39], v[110:111]
	s_delay_alu instid0(VALU_DEP_3) | instskip(SKIP_1) | instid1(VALU_DEP_4)
	v_add_f64_e32 v[82:83], v[162:163], v[82:83]
	v_mul_f64_e32 v[110:111], s[26:27], v[110:111]
	v_add_f64_e32 v[42:43], v[54:55], v[42:43]
	s_delay_alu instid0(VALU_DEP_4)
	v_fma_f64 v[162:163], v[108:109], s[2:3], -v[50:51]
	v_mul_f64_e32 v[54:55], s[50:51], v[118:119]
	v_mul_f64_e32 v[118:119], s[28:29], v[118:119]
	v_fma_f64 v[50:51], v[108:109], s[2:3], v[50:51]
	v_add_f64_e32 v[42:43], v[58:59], v[42:43]
	v_add_f64_e32 v[82:83], v[162:163], v[82:83]
	v_fma_f64 v[162:163], v[116:117], s[8:9], -v[54:55]
	v_mul_f64_e32 v[58:59], s[34:35], v[126:127]
	scratch_load_b64 v[126:127], off, off offset:256 th:TH_LOAD_LU ; 8-byte Folded Reload
	v_add_f64_e32 v[82:83], v[162:163], v[82:83]
	v_fma_f64 v[162:163], v[124:125], s[20:21], -v[58:59]
	s_delay_alu instid0(VALU_DEP_1) | instskip(SKIP_3) | instid1(VALU_DEP_3)
	v_add_f64_e32 v[164:165], v[162:163], v[82:83]
	v_mul_f64_e32 v[82:83], s[34:35], v[122:123]
	v_fma_f64 v[122:123], v[86:87], s[10:11], -v[174:175]
	v_fma_f64 v[174:175], v[120:121], s[18:19], v[218:219]
	v_fma_f64 v[162:163], v[120:121], s[20:21], v[82:83]
	s_delay_alu instid0(VALU_DEP_1) | instskip(SKIP_1) | instid1(VALU_DEP_1)
	v_add_f64_e32 v[162:163], v[162:163], v[42:43]
	v_mul_f64_e32 v[42:43], s[46:47], v[134:135]
	v_fma_f64 v[134:135], v[86:87], s[2:3], -v[42:43]
	v_fma_f64 v[42:43], v[86:87], s[2:3], v[42:43]
	s_delay_alu instid0(VALU_DEP_2) | instskip(SKIP_1) | instid1(VALU_DEP_1)
	v_add_f64_e32 v[134:135], v[134:135], v[166:167]
	v_fma_f64 v[166:167], v[84:85], s[2:3], v[132:133]
	v_add_f64_e32 v[166:167], v[166:167], v[168:169]
	v_fma_f64 v[168:169], v[92:93], s[20:21], -v[130:131]
	v_fma_f64 v[130:131], v[92:93], s[20:21], v[130:131]
	s_delay_alu instid0(VALU_DEP_2) | instskip(SKIP_2) | instid1(VALU_DEP_2)
	v_add_f64_e32 v[134:135], v[168:169], v[134:135]
	v_fma_f64 v[168:169], v[88:89], s[20:21], v[90:91]
	v_fma_f64 v[90:91], v[88:89], s[20:21], -v[90:91]
	v_add_f64_e32 v[166:167], v[168:169], v[166:167]
	v_mul_f64_e32 v[168:169], s[36:37], v[106:107]
	s_delay_alu instid0(VALU_DEP_1) | instskip(NEXT) | instid1(VALU_DEP_1)
	v_fma_f64 v[106:107], v[18:19], s[18:19], -v[168:169]
	v_add_f64_e32 v[106:107], v[106:107], v[134:135]
	v_fma_f64 v[134:135], v[16:17], s[18:19], v[94:95]
	v_fma_f64 v[94:95], v[16:17], s[18:19], -v[94:95]
	s_delay_alu instid0(VALU_DEP_2) | instskip(SKIP_1) | instid1(VALU_DEP_1)
	v_add_f64_e32 v[134:135], v[134:135], v[166:167]
	v_mul_f64_e32 v[166:167], s[30:31], v[104:105]
	v_fma_f64 v[104:105], v[102:103], s[0:1], -v[166:167]
	s_delay_alu instid0(VALU_DEP_1) | instskip(SKIP_1) | instid1(VALU_DEP_1)
	v_add_f64_e32 v[104:105], v[104:105], v[106:107]
	v_fma_f64 v[106:107], v[96:97], s[0:1], v[98:99]
	v_add_f64_e32 v[106:107], v[106:107], v[134:135]
	v_fma_f64 v[134:135], v[108:109], s[16:17], -v[110:111]
	s_delay_alu instid0(VALU_DEP_1) | instskip(SKIP_1) | instid1(VALU_DEP_1)
	v_add_f64_e32 v[104:105], v[134:135], v[104:105]
	v_mul_f64_e32 v[134:135], s[26:27], v[128:129]
	v_fma_f64 v[128:129], v[100:101], s[16:17], v[134:135]
	s_delay_alu instid0(VALU_DEP_1) | instskip(SKIP_1) | instid1(VALU_DEP_1)
	v_add_f64_e32 v[106:107], v[128:129], v[106:107]
	v_fma_f64 v[128:129], v[116:117], s[22:23], -v[118:119]
	v_add_f64_e32 v[104:105], v[128:129], v[104:105]
	v_fma_f64 v[128:129], v[112:113], s[22:23], v[114:115]
	s_delay_alu instid0(VALU_DEP_1) | instskip(SKIP_2) | instid1(VALU_DEP_2)
	v_add_f64_e32 v[128:129], v[128:129], v[106:107]
	v_fma_f64 v[106:107], v[124:125], s[8:9], -v[60:61]
	v_fma_f64 v[60:61], v[124:125], s[8:9], v[60:61]
	v_add_f64_e32 v[106:107], v[106:107], v[104:105]
	v_fma_f64 v[104:105], v[120:121], s[8:9], v[62:63]
	v_fma_f64 v[62:63], v[120:121], s[8:9], -v[62:63]
	s_delay_alu instid0(VALU_DEP_2)
	v_add_f64_e32 v[104:105], v[104:105], v[128:129]
	scratch_load_b64 v[128:129], off, off offset:248 th:TH_LOAD_LU ; 8-byte Folded Reload
	s_wait_loadcnt 0x1
	v_add_f64_e32 v[122:123], v[122:123], v[126:127]
	v_fma_f64 v[126:127], v[84:85], s[10:11], v[176:177]
	s_wait_loadcnt 0x0
	s_delay_alu instid0(VALU_DEP_1) | instskip(SKIP_1) | instid1(VALU_DEP_1)
	v_add_f64_e32 v[126:127], v[126:127], v[128:129]
	v_fma_f64 v[128:129], v[92:93], s[22:23], -v[178:179]
	v_add_f64_e32 v[122:123], v[128:129], v[122:123]
	v_fma_f64 v[128:129], v[88:89], s[22:23], v[180:181]
	s_delay_alu instid0(VALU_DEP_1) | instskip(SKIP_1) | instid1(VALU_DEP_1)
	v_add_f64_e32 v[126:127], v[128:129], v[126:127]
	v_fma_f64 v[128:129], v[18:19], s[2:3], -v[190:191]
	v_add_f64_e32 v[122:123], v[128:129], v[122:123]
	v_fma_f64 v[128:129], v[16:17], s[2:3], v[192:193]
	;; [unrolled: 5-line block ×4, first 2 shown]
	v_dual_mov_b32 v210, v67 :: v_dual_mov_b32 v209, v66
	v_dual_mov_b32 v208, v65 :: v_dual_mov_b32 v207, v64
	scratch_load_b128 v[64:67], off, off offset:48 ; 16-byte Folded Reload
	v_add_f64_e32 v[126:127], v[128:129], v[126:127]
	v_fma_f64 v[128:129], v[116:117], s[0:1], -v[212:213]
	s_delay_alu instid0(VALU_DEP_1)
	v_add_f64_e32 v[122:123], v[128:129], v[122:123]
	v_fma_f64 v[128:129], v[112:113], s[0:1], v[214:215]
	v_dual_mov_b32 v214, v71 :: v_dual_mov_b32 v213, v70
	v_dual_mov_b32 v212, v69 :: v_dual_mov_b32 v211, v68
	;; [unrolled: 1-line block ×6, first 2 shown]
	v_add_f64_e32 v[126:127], v[128:129], v[126:127]
	v_fma_f64 v[128:129], v[124:125], s[18:19], -v[216:217]
	v_dual_mov_b32 v218, v185 :: v_dual_mov_b32 v217, v184
	v_mov_b32_e32 v216, v183
	s_delay_alu instid0(VALU_DEP_4) | instskip(NEXT) | instid1(VALU_DEP_4)
	v_add_f64_e32 v[126:127], v[174:175], v[126:127]
	v_add_f64_e32 v[128:129], v[128:129], v[122:123]
	scratch_load_b64 v[122:123], off, off offset:224 th:TH_LOAD_LU ; 8-byte Folded Reload
	s_wait_loadcnt 0x0
	v_add_f64_e32 v[42:43], v[42:43], v[122:123]
	v_fma_f64 v[122:123], v[84:85], s[2:3], -v[132:133]
	scratch_load_b64 v[132:133], off, off offset:216 th:TH_LOAD_LU ; 8-byte Folded Reload
	v_add_f64_e32 v[42:43], v[130:131], v[42:43]
	s_wait_loadcnt 0x0
	v_add_f64_e32 v[122:123], v[122:123], v[132:133]
	s_delay_alu instid0(VALU_DEP_1) | instskip(SKIP_1) | instid1(VALU_DEP_2)
	v_add_f64_e32 v[90:91], v[90:91], v[122:123]
	v_fma_f64 v[122:123], v[18:19], s[18:19], v[168:169]
	v_add_f64_e32 v[90:91], v[94:95], v[90:91]
	s_delay_alu instid0(VALU_DEP_2) | instskip(SKIP_1) | instid1(VALU_DEP_1)
	v_add_f64_e32 v[42:43], v[122:123], v[42:43]
	v_fma_f64 v[94:95], v[102:103], s[0:1], v[166:167]
	v_add_f64_e32 v[42:43], v[94:95], v[42:43]
	v_fma_f64 v[94:95], v[96:97], s[0:1], -v[98:99]
	s_delay_alu instid0(VALU_DEP_1) | instskip(SKIP_1) | instid1(VALU_DEP_1)
	v_add_f64_e32 v[90:91], v[94:95], v[90:91]
	v_fma_f64 v[94:95], v[108:109], s[16:17], v[110:111]
	v_add_f64_e32 v[42:43], v[94:95], v[42:43]
	v_fma_f64 v[94:95], v[100:101], s[16:17], -v[134:135]
	s_delay_alu instid0(VALU_DEP_1) | instskip(SKIP_1) | instid1(VALU_DEP_1)
	v_add_f64_e32 v[90:91], v[94:95], v[90:91]
	v_fma_f64 v[94:95], v[116:117], s[22:23], v[118:119]
	v_add_f64_e32 v[42:43], v[94:95], v[42:43]
	v_fma_f64 v[94:95], v[112:113], s[22:23], -v[114:115]
	s_delay_alu instid0(VALU_DEP_2) | instskip(SKIP_3) | instid1(VALU_DEP_1)
	v_add_f64_e32 v[132:133], v[60:61], v[42:43]
	scratch_load_b64 v[60:61], off, off offset:192 th:TH_LOAD_LU ; 8-byte Folded Reload
	v_fma_f64 v[42:43], v[86:87], s[0:1], v[80:81]
	v_add_f64_e32 v[90:91], v[94:95], v[90:91]
	v_add_f64_e32 v[130:131], v[62:63], v[90:91]
	s_wait_loadcnt 0x0
	s_delay_alu instid0(VALU_DEP_3) | instskip(SKIP_1) | instid1(VALU_DEP_1)
	v_add_f64_e32 v[42:43], v[42:43], v[60:61]
	v_fma_f64 v[60:61], v[92:93], s[10:11], v[170:171]
	v_add_f64_e32 v[42:43], v[60:61], v[42:43]
	v_fma_f64 v[60:61], v[18:19], s[22:23], v[242:243]
	s_delay_alu instid0(VALU_DEP_1) | instskip(SKIP_1) | instid1(VALU_DEP_1)
	v_add_f64_e32 v[42:43], v[60:61], v[42:43]
	v_fma_f64 v[60:61], v[102:103], s[18:19], v[246:247]
	v_add_f64_e32 v[42:43], v[60:61], v[42:43]
	s_delay_alu instid0(VALU_DEP_1) | instskip(SKIP_3) | instid1(VALU_DEP_1)
	v_add_f64_e32 v[42:43], v[50:51], v[42:43]
	scratch_load_b64 v[50:51], off, off offset:184 th:TH_LOAD_LU ; 8-byte Folded Reload
	s_wait_loadcnt 0x0
	v_add_f64_e32 v[40:41], v[40:41], v[50:51]
	v_add_f64_e32 v[40:41], v[44:45], v[40:41]
	v_fma_f64 v[44:45], v[16:17], s[22:23], -v[244:245]
	s_delay_alu instid0(VALU_DEP_1) | instskip(SKIP_2) | instid1(VALU_DEP_2)
	v_add_f64_e32 v[40:41], v[44:45], v[40:41]
	v_fma_f64 v[44:45], v[96:97], s[18:19], -v[48:49]
	v_fma_f64 v[48:49], v[120:121], s[20:21], -v[82:83]
	v_add_f64_e32 v[40:41], v[44:45], v[40:41]
	v_fma_f64 v[44:45], v[100:101], s[2:3], -v[52:53]
	s_delay_alu instid0(VALU_DEP_1) | instskip(SKIP_1) | instid1(VALU_DEP_1)
	v_add_f64_e32 v[40:41], v[44:45], v[40:41]
	v_fma_f64 v[44:45], v[116:117], s[8:9], v[54:55]
	v_add_f64_e32 v[42:43], v[44:45], v[42:43]
	v_fma_f64 v[44:45], v[112:113], s[8:9], -v[56:57]
	s_delay_alu instid0(VALU_DEP_1) | instskip(SKIP_1) | instid1(VALU_DEP_2)
	v_add_f64_e32 v[40:41], v[44:45], v[40:41]
	v_fma_f64 v[44:45], v[124:125], s[20:21], v[58:59]
	v_add_f64_e32 v[166:167], v[48:49], v[40:41]
	scratch_load_b64 v[40:41], off, off offset:176 th:TH_LOAD_LU ; 8-byte Folded Reload
	v_add_f64_e32 v[168:169], v[44:45], v[42:43]
	v_fma_f64 v[42:43], v[92:93], s[0:1], v[188:189]
	s_wait_loadcnt 0x0
	v_add_f64_e32 v[6:7], v[6:7], v[40:41]
	v_fma_f64 v[40:41], v[84:85], s[8:9], -v[4:5]
	s_delay_alu instid0(VALU_DEP_2) | instskip(NEXT) | instid1(VALU_DEP_2)
	v_add_f64_e32 v[6:7], v[42:43], v[6:7]
	v_add_f64_e32 v[40:41], v[40:41], v[172:173]
	v_fma_f64 v[42:43], v[88:89], s[0:1], -v[2:3]
	scratch_load_b64 v[2:3], off, off offset:272 th:TH_LOAD_LU ; 8-byte Folded Reload
	v_add_f64_e32 v[40:41], v[42:43], v[40:41]
	v_fma_f64 v[42:43], v[18:19], s[10:11], v[186:187]
	s_delay_alu instid0(VALU_DEP_1) | instskip(SKIP_1) | instid1(VALU_DEP_1)
	v_add_f64_e32 v[6:7], v[42:43], v[6:7]
	v_fma_f64 v[42:43], v[16:17], s[10:11], -v[148:149]
	v_add_f64_e32 v[40:41], v[42:43], v[40:41]
	v_fma_f64 v[42:43], v[102:103], s[20:21], v[0:1]
	scratch_load_b64 v[0:1], off, off offset:152 th:TH_LOAD_LU ; 8-byte Folded Reload
	v_add_f64_e32 v[6:7], v[42:43], v[6:7]
	v_fma_f64 v[42:43], v[96:97], s[20:21], -v[202:203]
	scratch_load_b128 v[203:206], off, off offset:32 ; 16-byte Folded Reload
	v_add_f64_e32 v[40:41], v[42:43], v[40:41]
	v_fma_f64 v[42:43], v[108:109], s[22:23], v[236:237]
	s_delay_alu instid0(VALU_DEP_1) | instskip(SKIP_1) | instid1(VALU_DEP_1)
	v_add_f64_e32 v[6:7], v[42:43], v[6:7]
	v_fma_f64 v[42:43], v[100:101], s[22:23], -v[200:201]
	v_add_f64_e32 v[40:41], v[42:43], v[40:41]
	v_fma_f64 v[42:43], v[116:117], s[16:17], v[238:239]
	s_delay_alu instid0(VALU_DEP_1) | instskip(SKIP_1) | instid1(VALU_DEP_2)
	v_add_f64_e32 v[6:7], v[42:43], v[6:7]
	v_fma_f64 v[42:43], v[112:113], s[16:17], -v[240:241]
	v_add_f64_e32 v[172:173], v[36:37], v[6:7]
	v_fma_f64 v[6:7], v[86:87], s[16:17], v[76:77]
	s_delay_alu instid0(VALU_DEP_3) | instskip(SKIP_1) | instid1(VALU_DEP_2)
	v_add_f64_e32 v[40:41], v[42:43], v[40:41]
	v_fma_f64 v[36:37], v[84:85], s[16:17], -v[146:147]
	v_add_f64_e32 v[170:171], v[38:39], v[40:41]
	v_fma_f64 v[38:39], v[92:93], s[8:9], v[252:253]
	s_wait_loadcnt 0x1
	v_add_f64_e32 v[6:7], v[6:7], v[0:1]
	scratch_load_b64 v[0:1], off, off offset:144 th:TH_LOAD_LU ; 8-byte Folded Reload
	v_add_f64_e32 v[6:7], v[38:39], v[6:7]
	v_fma_f64 v[38:39], v[88:89], s[8:9], -v[140:141]
	s_wait_loadcnt 0x0
	v_add_f64_e32 v[36:37], v[36:37], v[0:1]
	v_fma_f64 v[0:1], v[18:19], s[0:1], v[46:47]
	s_delay_alu instid0(VALU_DEP_2) | instskip(NEXT) | instid1(VALU_DEP_2)
	v_add_f64_e32 v[36:37], v[38:39], v[36:37]
	v_add_f64_e32 v[0:1], v[0:1], v[6:7]
	v_fma_f64 v[6:7], v[16:17], s[0:1], -v[254:255]
	v_mov_b32_e32 v255, v139
	s_delay_alu instid0(VALU_DEP_3) | instskip(NEXT) | instid1(VALU_DEP_3)
	v_add_f64_e32 v[0:1], v[32:33], v[0:1]
	v_add_f64_e32 v[6:7], v[6:7], v[36:37]
	v_fma_f64 v[32:33], v[96:97], s[2:3], -v[220:221]
	s_delay_alu instid0(VALU_DEP_1) | instskip(SKIP_2) | instid1(VALU_DEP_2)
	v_add_f64_e32 v[6:7], v[32:33], v[6:7]
	v_fma_f64 v[32:33], v[108:109], s[10:11], v[8:9]
	v_fma_f64 v[8:9], v[116:117], s[2:3], v[144:145]
	v_add_f64_e32 v[0:1], v[32:33], v[0:1]
	v_fma_f64 v[32:33], v[100:101], s[10:11], -v[12:13]
	s_delay_alu instid0(VALU_DEP_2) | instskip(NEXT) | instid1(VALU_DEP_2)
	v_add_f64_e32 v[0:1], v[14:15], v[0:1]
	v_add_f64_e32 v[6:7], v[32:33], v[6:7]
	v_fma_f64 v[14:15], v[112:113], s[18:19], -v[34:35]
	s_delay_alu instid0(VALU_DEP_1) | instskip(SKIP_1) | instid1(VALU_DEP_2)
	v_add_f64_e32 v[6:7], v[14:15], v[6:7]
	v_fma_f64 v[14:15], v[124:125], s[22:23], v[78:79]
	v_add_f64_e32 v[80:81], v[10:11], v[6:7]
	s_delay_alu instid0(VALU_DEP_2)
	v_add_f64_e32 v[82:83], v[14:15], v[0:1]
	scratch_load_b64 v[0:1], off, off offset:264 th:TH_LOAD_LU ; 8-byte Folded Reload
	v_fma_f64 v[6:7], v[84:85], s[20:21], -v[2:3]
	scratch_load_b64 v[2:3], off, off offset:280 th:TH_LOAD_LU ; 8-byte Folded Reload
	s_wait_loadcnt 0x0
	v_fma_f64 v[10:11], v[92:93], s[18:19], v[2:3]
	scratch_load_b64 v[2:3], off, off offset:136 th:TH_LOAD_LU ; 8-byte Folded Reload
	v_fma_f64 v[0:1], v[86:87], s[20:21], v[0:1]
	s_wait_loadcnt 0x0
	s_delay_alu instid0(VALU_DEP_1)
	v_add_f64_e32 v[0:1], v[0:1], v[2:3]
	scratch_load_b64 v[2:3], off, off offset:288 th:TH_LOAD_LU ; 8-byte Folded Reload
	v_add_f64_e32 v[0:1], v[10:11], v[0:1]
	s_wait_loadcnt 0x0
	v_fma_f64 v[14:15], v[88:89], s[18:19], -v[2:3]
	scratch_load_b64 v[2:3], off, off offset:128 th:TH_LOAD_LU ; 8-byte Folded Reload
	s_wait_loadcnt 0x0
	v_add_f64_e32 v[6:7], v[6:7], v[2:3]
	scratch_load_b64 v[2:3], off, off offset:296 th:TH_LOAD_LU ; 8-byte Folded Reload
	v_add_f64_e32 v[6:7], v[14:15], v[6:7]
	s_wait_loadcnt 0x0
	v_fma_f64 v[18:19], v[18:19], s[16:17], v[2:3]
	scratch_load_b64 v[2:3], off, off offset:304 th:TH_LOAD_LU ; 8-byte Folded Reload
	v_add_f64_e32 v[0:1], v[18:19], v[0:1]
	s_wait_loadcnt 0x0
	v_fma_f64 v[10:11], v[16:17], s[16:17], -v[2:3]
	scratch_load_b64 v[2:3], off, off offset:312 th:TH_LOAD_LU ; 8-byte Folded Reload
	v_add_f64_e32 v[6:7], v[10:11], v[6:7]
	v_fma_f64 v[10:11], v[108:109], s[8:9], v[198:199]
	s_wait_loadcnt 0x0
	v_fma_f64 v[14:15], v[102:103], s[10:11], v[2:3]
	scratch_load_b64 v[2:3], off, off offset:320 th:TH_LOAD_LU ; 8-byte Folded Reload
	v_add_f64_e32 v[0:1], v[14:15], v[0:1]
	s_delay_alu instid0(VALU_DEP_1) | instskip(NEXT) | instid1(VALU_DEP_1)
	v_add_f64_e32 v[0:1], v[10:11], v[0:1]
	v_add_f64_e32 v[0:1], v[8:9], v[0:1]
	s_wait_loadcnt 0x0
	v_fma_f64 v[16:17], v[96:97], s[10:11], -v[2:3]
	scratch_load_b64 v[2:3], off, off offset:328 th:TH_LOAD_LU ; 8-byte Folded Reload
	v_add_f64_e32 v[6:7], v[16:17], v[6:7]
	s_wait_loadcnt 0x0
	v_fma_f64 v[12:13], v[100:101], s[8:9], -v[2:3]
	scratch_load_b64 v[2:3], off, off offset:336 th:TH_LOAD_LU ; 8-byte Folded Reload
	;; [unrolled: 4-line block ×3, first 2 shown]
	v_add_f64_e32 v[6:7], v[10:11], v[6:7]
	s_wait_loadcnt 0x0
	v_fma_f64 v[4:5], v[124:125], s[0:1], v[2:3]
	s_clause 0x1
	scratch_load_b32 v125, off, off offset:72
	scratch_load_b32 v124, off, off offset:64
	v_fma_f64 v[2:3], v[120:121], s[0:1], -v[142:143]
	v_add_f64_e32 v[18:19], v[4:5], v[0:1]
	s_clause 0x1
	scratch_load_b32 v0, off, off
	scratch_load_b32 v1, off, off offset:8 th:TH_LOAD_LU
	v_add_f64_e32 v[16:17], v[2:3], v[6:7]
	s_wait_loadcnt 0x1
	v_mul_lo_u16 v0, v0, 17
	s_delay_alu instid0(VALU_DEP_1) | instskip(SKIP_1) | instid1(VALU_DEP_1)
	v_dual_mov_b32 v215, v182 :: v_dual_and_b32 v0, 0xffff, v0
	s_wait_loadcnt 0x0
	v_lshl_add_u32 v0, v0, 4, v1
	scratch_load_b128 v[1:4], off, off offset:80 th:TH_LOAD_LU ; 16-byte Folded Reload
	s_wait_loadcnt 0x0
	ds_store_b128 v0, v[1:4]
	ds_store_b128 v0, v[150:153] offset:16
	ds_store_b128 v0, v[154:157] offset:32
	;; [unrolled: 1-line block ×6, first 2 shown]
	scratch_load_b128 v[1:4], off, off offset:200 th:TH_LOAD_LU ; 16-byte Folded Reload
	s_wait_loadcnt 0x0
	ds_store_b128 v0, v[1:4] offset:112
	scratch_load_b128 v[1:4], off, off offset:112 th:TH_LOAD_LU ; 16-byte Folded Reload
	s_wait_loadcnt 0x0
	ds_store_b128 v0, v[1:4] offset:128
	;; [unrolled: 3-line block ×5, first 2 shown]
	ds_store_b128 v0, v[130:133] offset:192
	ds_store_b128 v0, v[166:169] offset:208
	;; [unrolled: 1-line block ×5, first 2 shown]
.LBB0_13:
	s_or_b32 exec_lo, exec_lo, s33
	global_wb scope:SCOPE_SE
	s_wait_storecnt_dscnt 0x0
	s_barrier_signal -1
	s_barrier_wait -1
	global_inv scope:SCOPE_SE
	ds_load_b128 v[0:3], v137 offset:816
	ds_load_b128 v[4:7], v137 offset:1632
	;; [unrolled: 1-line block ×10, first 2 shown]
	s_mov_b32 s0, 0xe8584caa
	s_mov_b32 s1, 0xbfebb67a
	;; [unrolled: 1-line block ×3, first 2 shown]
	s_wait_alu 0xfffe
	s_mov_b32 s2, s0
	s_wait_dscnt 0x9
	v_mul_f64_e32 v[32:33], v[30:31], v[2:3]
	v_mul_f64_e32 v[34:35], v[30:31], v[0:1]
	s_wait_dscnt 0x8
	v_mul_f64_e32 v[36:37], v[26:27], v[6:7]
	v_mul_f64_e32 v[38:39], v[26:27], v[4:5]
	;; [unrolled: 3-line block ×9, first 2 shown]
	v_fma_f64 v[32:33], v[28:29], v[0:1], v[32:33]
	v_fma_f64 v[34:35], v[28:29], v[2:3], -v[34:35]
	v_fma_f64 v[36:37], v[24:25], v[4:5], v[36:37]
	v_fma_f64 v[38:39], v[24:25], v[6:7], -v[38:39]
	;; [unrolled: 2-line block ×9, first 2 shown]
	ds_load_b128 v[0:3], v137
	ds_load_b128 v[4:7], v137 offset:272
	global_wb scope:SCOPE_SE
	s_wait_dscnt 0x0
	s_barrier_signal -1
	s_barrier_wait -1
	global_inv scope:SCOPE_SE
	v_add_f64_e64 v[36:37], v[0:1], -v[36:37]
	v_add_f64_e64 v[38:39], v[2:3], -v[38:39]
	;; [unrolled: 1-line block ×12, first 2 shown]
	v_fma_f64 v[40:41], v[0:1], 2.0, -v[36:37]
	v_fma_f64 v[42:43], v[2:3], 2.0, -v[38:39]
	v_fma_f64 v[28:29], v[32:33], 2.0, -v[8:9]
	v_fma_f64 v[30:31], v[34:35], 2.0, -v[10:11]
	v_add_f64_e32 v[0:1], v[36:37], v[10:11]
	v_add_f64_e64 v[2:3], v[38:39], -v[8:9]
	v_fma_f64 v[34:35], v[4:5], 2.0, -v[44:45]
	v_fma_f64 v[52:53], v[6:7], 2.0, -v[46:47]
	v_fma_f64 v[32:33], v[12:13], 2.0, -v[16:17]
	v_fma_f64 v[54:55], v[14:15], 2.0, -v[18:19]
	v_add_f64_e32 v[4:5], v[44:45], v[18:19]
	v_add_f64_e64 v[6:7], v[46:47], -v[16:17]
	;; [unrolled: 6-line block ×3, first 2 shown]
	v_add_f64_e64 v[12:13], v[40:41], -v[28:29]
	v_add_f64_e64 v[14:15], v[42:43], -v[30:31]
	v_fma_f64 v[24:25], v[36:37], 2.0, -v[0:1]
	v_add_f64_e64 v[16:17], v[34:35], -v[32:33]
	v_add_f64_e64 v[18:19], v[52:53], -v[54:55]
	v_fma_f64 v[28:29], v[44:45], 2.0, -v[4:5]
	v_fma_f64 v[30:31], v[46:47], 2.0, -v[6:7]
	v_add_f64_e64 v[20:21], v[56:57], -v[22:23]
	v_add_f64_e64 v[22:23], v[58:59], -v[26:27]
	v_fma_f64 v[26:27], v[38:39], 2.0, -v[2:3]
	v_fma_f64 v[32:33], v[48:49], 2.0, -v[8:9]
	;; [unrolled: 1-line block ×9, first 2 shown]
	ds_store_b128 v137, v[12:15] offset:544
	ds_store_b128 v137, v[0:3] offset:816
	;; [unrolled: 1-line block ×4, first 2 shown]
	ds_store_b128 v137, v[36:39]
	ds_store_b128 v137, v[24:27] offset:272
	ds_store_b128 v137, v[40:43] offset:1088
	;; [unrolled: 1-line block ×7, first 2 shown]
	global_wb scope:SCOPE_SE
	s_wait_dscnt 0x0
	s_barrier_signal -1
	s_barrier_wait -1
	global_inv scope:SCOPE_SE
	ds_load_b128 v[0:3], v137 offset:1088
	ds_load_b128 v[4:7], v137 offset:2176
	;; [unrolled: 1-line block ×8, first 2 shown]
	s_wait_dscnt 0x7
	v_mul_f64_e32 v[32:33], v[70:71], v[2:3]
	v_mul_f64_e32 v[34:35], v[70:71], v[0:1]
	s_wait_dscnt 0x6
	v_mul_f64_e32 v[36:37], v[66:67], v[6:7]
	v_mul_f64_e32 v[38:39], v[66:67], v[4:5]
	;; [unrolled: 3-line block ×8, first 2 shown]
	v_fma_f64 v[32:33], v[68:69], v[0:1], v[32:33]
	v_fma_f64 v[34:35], v[68:69], v[2:3], -v[34:35]
	v_fma_f64 v[36:37], v[64:65], v[4:5], v[36:37]
	v_fma_f64 v[38:39], v[64:65], v[6:7], -v[38:39]
	;; [unrolled: 2-line block ×8, first 2 shown]
	ds_load_b128 v[0:3], v137
	ds_load_b128 v[4:7], v137 offset:272
	ds_load_b128 v[8:11], v137 offset:544
	;; [unrolled: 1-line block ×3, first 2 shown]
	s_wait_dscnt 0x3
	v_add_f64_e32 v[64:65], v[0:1], v[32:33]
	v_add_f64_e32 v[48:49], v[32:33], v[36:37]
	;; [unrolled: 1-line block ×3, first 2 shown]
	v_add_f64_e64 v[66:67], v[34:35], -v[38:39]
	v_add_f64_e32 v[34:35], v[2:3], v[34:35]
	v_add_f64_e32 v[52:53], v[40:41], v[44:45]
	;; [unrolled: 1-line block ×3, first 2 shown]
	s_wait_dscnt 0x2
	v_add_f64_e32 v[68:69], v[4:5], v[40:41]
	v_add_f64_e32 v[70:71], v[6:7], v[42:43]
	v_add_f64_e32 v[56:57], v[16:17], v[20:21]
	v_add_f64_e32 v[58:59], v[18:19], v[22:23]
	s_wait_dscnt 0x1
	v_add_f64_e32 v[72:73], v[8:9], v[16:17]
	v_add_f64_e32 v[74:75], v[10:11], v[18:19]
	;; [unrolled: 1-line block ×4, first 2 shown]
	v_add_f64_e64 v[32:33], v[32:33], -v[36:37]
	v_add_f64_e64 v[42:43], v[42:43], -v[46:47]
	v_add_f64_e64 v[40:41], v[40:41], -v[44:45]
	s_wait_dscnt 0x0
	v_add_f64_e32 v[76:77], v[12:13], v[24:25]
	v_add_f64_e32 v[78:79], v[14:15], v[26:27]
	v_add_f64_e64 v[80:81], v[18:19], -v[22:23]
	v_add_f64_e64 v[82:83], v[16:17], -v[20:21]
	;; [unrolled: 1-line block ×4, first 2 shown]
	v_fma_f64 v[48:49], v[48:49], -0.5, v[0:1]
	v_fma_f64 v[50:51], v[50:51], -0.5, v[2:3]
	v_add_f64_e32 v[0:1], v[64:65], v[36:37]
	v_add_f64_e32 v[2:3], v[34:35], v[38:39]
	v_fma_f64 v[52:53], v[52:53], -0.5, v[4:5]
	v_fma_f64 v[54:55], v[54:55], -0.5, v[6:7]
	v_add_f64_e32 v[4:5], v[68:69], v[44:45]
	v_add_f64_e32 v[6:7], v[70:71], v[46:47]
	;; [unrolled: 4-line block ×4, first 2 shown]
	s_wait_alu 0xfffe
	v_fma_f64 v[20:21], v[66:67], s[2:3], v[48:49]
	v_fma_f64 v[22:23], v[32:33], s[0:1], v[50:51]
	;; [unrolled: 1-line block ×16, first 2 shown]
	s_and_b32 s0, exec_lo, vcc_lo
	ds_store_b128 v138, v[0:3]
	ds_store_b128 v138, v[4:7] offset:272
	ds_store_b128 v138, v[20:23] offset:2176
	;; [unrolled: 1-line block ×11, first 2 shown]
	global_wb scope:SCOPE_SE
	s_wait_dscnt 0x0
	s_barrier_signal -1
	s_barrier_wait -1
	global_inv scope:SCOPE_SE
	scratch_load_b64 v[15:16], off, off offset:12 ; 8-byte Folded Reload
	s_wait_alu 0xfffe
	s_mov_b32 exec_lo, s0
	s_cbranch_execz .LBB0_15
; %bb.14:
	global_load_b128 v[3:6], v136, s[12:13]
	s_clause 0x1
	scratch_load_b32 v0, off, off offset:4 th:TH_LOAD_LU
	scratch_load_b32 v17, off, off th:TH_LOAD_LU
	ds_load_b128 v[7:10], v138
	s_mov_b32 s0, 0x14141414
	s_mov_b32 s1, 0x3f741414
	s_mul_u64 s[2:3], s[4:5], 0xc0
	s_wait_loadcnt 0x1
	v_lshl_add_u32 v2, v0, 4, v136
	s_wait_dscnt 0x0
	v_mul_f64_e32 v[0:1], v[9:10], v[5:6]
	v_mul_f64_e32 v[5:6], v[7:8], v[5:6]
	ds_load_b128 v[11:14], v2 offset:192
	v_fma_f64 v[0:1], v[7:8], v[3:4], v[0:1]
	v_fma_f64 v[5:6], v[3:4], v[9:10], -v[5:6]
	v_mad_co_u64_u32 v[7:8], null, s6, v15, 0
	s_wait_loadcnt 0x0
	v_mad_co_u64_u32 v[9:10], null, s4, v17, 0
	s_wait_alu 0xfffe
	s_delay_alu instid0(VALU_DEP_4) | instskip(NEXT) | instid1(VALU_DEP_4)
	v_mul_f64_e32 v[3:4], s[0:1], v[0:1]
	v_mul_f64_e32 v[5:6], s[0:1], v[5:6]
	s_delay_alu instid0(VALU_DEP_3) | instskip(NEXT) | instid1(VALU_DEP_1)
	v_dual_mov_b32 v0, v8 :: v_dual_mov_b32 v1, v10
	v_mad_co_u64_u32 v[15:16], null, s7, v15, v[0:1]
	v_mad_co_u64_u32 v[0:1], null, s5, v17, v[1:2]
	s_mul_u64 s[6:7], s[4:5], 0x180
	s_delay_alu instid0(VALU_DEP_2) | instskip(NEXT) | instid1(VALU_DEP_2)
	v_mov_b32_e32 v8, v15
	v_mov_b32_e32 v10, v0
	s_delay_alu instid0(VALU_DEP_2) | instskip(NEXT) | instid1(VALU_DEP_2)
	v_lshlrev_b64_e32 v[0:1], 4, v[7:8]
	v_lshlrev_b64_e32 v[7:8], 4, v[9:10]
	s_delay_alu instid0(VALU_DEP_2) | instskip(NEXT) | instid1(VALU_DEP_3)
	v_add_co_u32 v0, vcc_lo, s14, v0
	v_add_co_ci_u32_e32 v1, vcc_lo, s15, v1, vcc_lo
	s_delay_alu instid0(VALU_DEP_2) | instskip(SKIP_1) | instid1(VALU_DEP_2)
	v_add_co_u32 v7, vcc_lo, v0, v7
	s_wait_alu 0xfffd
	v_add_co_ci_u32_e32 v8, vcc_lo, v1, v8, vcc_lo
	s_delay_alu instid0(VALU_DEP_2)
	v_add_co_u32 v15, vcc_lo, v7, s2
	global_store_b128 v[7:8], v[3:6], off
	global_load_b128 v[3:6], v136, s[12:13] offset:192
	s_wait_alu 0xfffd
	v_add_co_ci_u32_e32 v16, vcc_lo, s3, v8, vcc_lo
	s_wait_loadcnt_dscnt 0x0
	v_mul_f64_e32 v[9:10], v[13:14], v[5:6]
	v_mul_f64_e32 v[5:6], v[11:12], v[5:6]
	s_delay_alu instid0(VALU_DEP_2) | instskip(NEXT) | instid1(VALU_DEP_2)
	v_fma_f64 v[9:10], v[11:12], v[3:4], v[9:10]
	v_fma_f64 v[5:6], v[3:4], v[13:14], -v[5:6]
	s_delay_alu instid0(VALU_DEP_2) | instskip(NEXT) | instid1(VALU_DEP_2)
	v_mul_f64_e32 v[3:4], s[0:1], v[9:10]
	v_mul_f64_e32 v[5:6], s[0:1], v[5:6]
	global_store_b128 v[15:16], v[3:6], off
	global_load_b128 v[3:6], v136, s[12:13] offset:384
	ds_load_b128 v[7:10], v2 offset:384
	ds_load_b128 v[11:14], v2 offset:576
	s_wait_loadcnt_dscnt 0x1
	v_mul_f64_e32 v[17:18], v[9:10], v[5:6]
	v_mul_f64_e32 v[5:6], v[7:8], v[5:6]
	s_delay_alu instid0(VALU_DEP_2) | instskip(NEXT) | instid1(VALU_DEP_2)
	v_fma_f64 v[7:8], v[7:8], v[3:4], v[17:18]
	v_fma_f64 v[5:6], v[3:4], v[9:10], -v[5:6]
	s_delay_alu instid0(VALU_DEP_2) | instskip(NEXT) | instid1(VALU_DEP_2)
	v_mul_f64_e32 v[3:4], s[0:1], v[7:8]
	v_mul_f64_e32 v[5:6], s[0:1], v[5:6]
	v_add_co_u32 v7, vcc_lo, v15, s2
	s_wait_alu 0xfffd
	v_add_co_ci_u32_e32 v8, vcc_lo, s3, v16, vcc_lo
	s_delay_alu instid0(VALU_DEP_2) | instskip(SKIP_1) | instid1(VALU_DEP_2)
	v_add_co_u32 v15, vcc_lo, v7, s2
	s_wait_alu 0xfffd
	v_add_co_ci_u32_e32 v16, vcc_lo, s3, v8, vcc_lo
	global_store_b128 v[7:8], v[3:6], off
	global_load_b128 v[3:6], v136, s[12:13] offset:576
	s_wait_loadcnt_dscnt 0x0
	v_mul_f64_e32 v[9:10], v[13:14], v[5:6]
	v_mul_f64_e32 v[5:6], v[11:12], v[5:6]
	s_delay_alu instid0(VALU_DEP_2) | instskip(NEXT) | instid1(VALU_DEP_2)
	v_fma_f64 v[9:10], v[11:12], v[3:4], v[9:10]
	v_fma_f64 v[5:6], v[3:4], v[13:14], -v[5:6]
	s_delay_alu instid0(VALU_DEP_2) | instskip(NEXT) | instid1(VALU_DEP_2)
	v_mul_f64_e32 v[3:4], s[0:1], v[9:10]
	v_mul_f64_e32 v[5:6], s[0:1], v[5:6]
	global_store_b128 v[15:16], v[3:6], off
	global_load_b128 v[3:6], v136, s[12:13] offset:768
	ds_load_b128 v[7:10], v2 offset:768
	ds_load_b128 v[11:14], v2 offset:960
	s_wait_loadcnt_dscnt 0x1
	v_mul_f64_e32 v[17:18], v[9:10], v[5:6]
	v_mul_f64_e32 v[5:6], v[7:8], v[5:6]
	s_delay_alu instid0(VALU_DEP_2) | instskip(SKIP_3) | instid1(VALU_DEP_2)
	v_fma_f64 v[7:8], v[7:8], v[3:4], v[17:18]
	scratch_load_b32 v17, off, off offset:28 th:TH_LOAD_LU ; 4-byte Folded Reload
	v_fma_f64 v[5:6], v[3:4], v[9:10], -v[5:6]
	v_mul_f64_e32 v[3:4], s[0:1], v[7:8]
	v_mul_f64_e32 v[5:6], s[0:1], v[5:6]
	s_wait_loadcnt 0x0
	v_mad_co_u64_u32 v[9:10], null, s4, v17, 0
	s_delay_alu instid0(VALU_DEP_1) | instskip(NEXT) | instid1(VALU_DEP_1)
	v_mov_b32_e32 v7, v10
	v_mad_co_u64_u32 v[7:8], null, s5, v17, v[7:8]
	s_delay_alu instid0(VALU_DEP_1) | instskip(NEXT) | instid1(VALU_DEP_1)
	v_mov_b32_e32 v10, v7
	v_lshlrev_b64_e32 v[7:8], 4, v[9:10]
	s_delay_alu instid0(VALU_DEP_1) | instskip(SKIP_1) | instid1(VALU_DEP_2)
	v_add_co_u32 v7, vcc_lo, v0, v7
	s_wait_alu 0xfffd
	v_add_co_ci_u32_e32 v8, vcc_lo, v1, v8, vcc_lo
	s_wait_alu 0xfffe
	v_add_co_u32 v15, vcc_lo, v15, s6
	s_wait_alu 0xfffd
	v_add_co_ci_u32_e32 v16, vcc_lo, s7, v16, vcc_lo
	global_store_b128 v[7:8], v[3:6], off
	global_load_b128 v[3:6], v136, s[12:13] offset:960
	s_wait_loadcnt_dscnt 0x0
	v_mul_f64_e32 v[7:8], v[13:14], v[5:6]
	v_mul_f64_e32 v[5:6], v[11:12], v[5:6]
	s_delay_alu instid0(VALU_DEP_2) | instskip(NEXT) | instid1(VALU_DEP_2)
	v_fma_f64 v[7:8], v[11:12], v[3:4], v[7:8]
	v_fma_f64 v[5:6], v[3:4], v[13:14], -v[5:6]
	s_delay_alu instid0(VALU_DEP_2) | instskip(NEXT) | instid1(VALU_DEP_2)
	v_mul_f64_e32 v[3:4], s[0:1], v[7:8]
	v_mul_f64_e32 v[5:6], s[0:1], v[5:6]
	global_store_b128 v[15:16], v[3:6], off
	global_load_b128 v[3:6], v136, s[12:13] offset:1152
	ds_load_b128 v[7:10], v2 offset:1152
	ds_load_b128 v[11:14], v2 offset:1344
	s_wait_loadcnt_dscnt 0x1
	v_mul_f64_e32 v[17:18], v[9:10], v[5:6]
	v_mul_f64_e32 v[5:6], v[7:8], v[5:6]
	s_delay_alu instid0(VALU_DEP_2) | instskip(NEXT) | instid1(VALU_DEP_2)
	v_fma_f64 v[7:8], v[7:8], v[3:4], v[17:18]
	v_fma_f64 v[5:6], v[3:4], v[9:10], -v[5:6]
	s_delay_alu instid0(VALU_DEP_2) | instskip(NEXT) | instid1(VALU_DEP_2)
	v_mul_f64_e32 v[3:4], s[0:1], v[7:8]
	v_mul_f64_e32 v[5:6], s[0:1], v[5:6]
	v_add_co_u32 v7, vcc_lo, v15, s2
	s_wait_alu 0xfffd
	v_add_co_ci_u32_e32 v8, vcc_lo, s3, v16, vcc_lo
	s_delay_alu instid0(VALU_DEP_2) | instskip(SKIP_1) | instid1(VALU_DEP_2)
	v_add_co_u32 v15, vcc_lo, v7, s2
	s_wait_alu 0xfffd
	v_add_co_ci_u32_e32 v16, vcc_lo, s3, v8, vcc_lo
	global_store_b128 v[7:8], v[3:6], off
	global_load_b128 v[3:6], v136, s[12:13] offset:1344
	s_wait_loadcnt_dscnt 0x0
	v_mul_f64_e32 v[9:10], v[13:14], v[5:6]
	v_mul_f64_e32 v[5:6], v[11:12], v[5:6]
	s_delay_alu instid0(VALU_DEP_2) | instskip(NEXT) | instid1(VALU_DEP_2)
	v_fma_f64 v[9:10], v[11:12], v[3:4], v[9:10]
	v_fma_f64 v[5:6], v[3:4], v[13:14], -v[5:6]
	s_delay_alu instid0(VALU_DEP_2) | instskip(NEXT) | instid1(VALU_DEP_2)
	v_mul_f64_e32 v[3:4], s[0:1], v[9:10]
	v_mul_f64_e32 v[5:6], s[0:1], v[5:6]
	global_store_b128 v[15:16], v[3:6], off
	global_load_b128 v[3:6], v136, s[12:13] offset:1536
	ds_load_b128 v[7:10], v2 offset:1536
	ds_load_b128 v[11:14], v2 offset:1728
	s_wait_loadcnt_dscnt 0x1
	v_mul_f64_e32 v[17:18], v[9:10], v[5:6]
	v_mul_f64_e32 v[5:6], v[7:8], v[5:6]
	s_delay_alu instid0(VALU_DEP_2) | instskip(SKIP_3) | instid1(VALU_DEP_2)
	v_fma_f64 v[7:8], v[7:8], v[3:4], v[17:18]
	scratch_load_b32 v17, off, off offset:24 th:TH_LOAD_LU ; 4-byte Folded Reload
	v_fma_f64 v[5:6], v[3:4], v[9:10], -v[5:6]
	v_mul_f64_e32 v[3:4], s[0:1], v[7:8]
	v_mul_f64_e32 v[5:6], s[0:1], v[5:6]
	s_wait_loadcnt 0x0
	v_mad_co_u64_u32 v[9:10], null, s4, v17, 0
	s_delay_alu instid0(VALU_DEP_1) | instskip(NEXT) | instid1(VALU_DEP_1)
	v_mov_b32_e32 v7, v10
	v_mad_co_u64_u32 v[7:8], null, s5, v17, v[7:8]
	s_delay_alu instid0(VALU_DEP_1) | instskip(NEXT) | instid1(VALU_DEP_1)
	v_mov_b32_e32 v10, v7
	v_lshlrev_b64_e32 v[7:8], 4, v[9:10]
	s_delay_alu instid0(VALU_DEP_1) | instskip(SKIP_1) | instid1(VALU_DEP_2)
	v_add_co_u32 v7, vcc_lo, v0, v7
	s_wait_alu 0xfffd
	v_add_co_ci_u32_e32 v8, vcc_lo, v1, v8, vcc_lo
	v_add_co_u32 v15, vcc_lo, v15, s6
	s_wait_alu 0xfffd
	v_add_co_ci_u32_e32 v16, vcc_lo, s7, v16, vcc_lo
	global_store_b128 v[7:8], v[3:6], off
	global_load_b128 v[3:6], v136, s[12:13] offset:1728
	s_wait_loadcnt_dscnt 0x0
	v_mul_f64_e32 v[7:8], v[13:14], v[5:6]
	v_mul_f64_e32 v[5:6], v[11:12], v[5:6]
	s_delay_alu instid0(VALU_DEP_2) | instskip(NEXT) | instid1(VALU_DEP_2)
	v_fma_f64 v[7:8], v[11:12], v[3:4], v[7:8]
	v_fma_f64 v[5:6], v[3:4], v[13:14], -v[5:6]
	s_delay_alu instid0(VALU_DEP_2) | instskip(NEXT) | instid1(VALU_DEP_2)
	v_mul_f64_e32 v[3:4], s[0:1], v[7:8]
	v_mul_f64_e32 v[5:6], s[0:1], v[5:6]
	global_store_b128 v[15:16], v[3:6], off
	global_load_b128 v[3:6], v136, s[12:13] offset:1920
	ds_load_b128 v[7:10], v2 offset:1920
	ds_load_b128 v[11:14], v2 offset:2112
	s_wait_loadcnt_dscnt 0x1
	v_mul_f64_e32 v[17:18], v[9:10], v[5:6]
	v_mul_f64_e32 v[5:6], v[7:8], v[5:6]
	s_delay_alu instid0(VALU_DEP_2) | instskip(NEXT) | instid1(VALU_DEP_2)
	v_fma_f64 v[7:8], v[7:8], v[3:4], v[17:18]
	v_fma_f64 v[5:6], v[3:4], v[9:10], -v[5:6]
	s_delay_alu instid0(VALU_DEP_2) | instskip(NEXT) | instid1(VALU_DEP_2)
	v_mul_f64_e32 v[3:4], s[0:1], v[7:8]
	v_mul_f64_e32 v[5:6], s[0:1], v[5:6]
	v_add_co_u32 v7, vcc_lo, v15, s2
	s_wait_alu 0xfffd
	v_add_co_ci_u32_e32 v8, vcc_lo, s3, v16, vcc_lo
	s_delay_alu instid0(VALU_DEP_2) | instskip(SKIP_1) | instid1(VALU_DEP_2)
	v_add_co_u32 v15, vcc_lo, v7, s2
	s_wait_alu 0xfffd
	v_add_co_ci_u32_e32 v16, vcc_lo, s3, v8, vcc_lo
	global_store_b128 v[7:8], v[3:6], off
	global_load_b128 v[3:6], v136, s[12:13] offset:2112
	s_wait_loadcnt_dscnt 0x0
	v_mul_f64_e32 v[9:10], v[13:14], v[5:6]
	v_mul_f64_e32 v[5:6], v[11:12], v[5:6]
	s_delay_alu instid0(VALU_DEP_2) | instskip(NEXT) | instid1(VALU_DEP_2)
	v_fma_f64 v[9:10], v[11:12], v[3:4], v[9:10]
	v_fma_f64 v[5:6], v[3:4], v[13:14], -v[5:6]
	s_delay_alu instid0(VALU_DEP_2) | instskip(NEXT) | instid1(VALU_DEP_2)
	v_mul_f64_e32 v[3:4], s[0:1], v[9:10]
	v_mul_f64_e32 v[5:6], s[0:1], v[5:6]
	global_store_b128 v[15:16], v[3:6], off
	global_load_b128 v[3:6], v136, s[12:13] offset:2304
	ds_load_b128 v[7:10], v2 offset:2304
	ds_load_b128 v[11:14], v2 offset:2496
	s_wait_loadcnt_dscnt 0x1
	v_mul_f64_e32 v[17:18], v[9:10], v[5:6]
	v_mul_f64_e32 v[5:6], v[7:8], v[5:6]
	s_delay_alu instid0(VALU_DEP_2) | instskip(SKIP_3) | instid1(VALU_DEP_2)
	v_fma_f64 v[7:8], v[7:8], v[3:4], v[17:18]
	scratch_load_b32 v17, off, off offset:20 th:TH_LOAD_LU ; 4-byte Folded Reload
	v_fma_f64 v[5:6], v[3:4], v[9:10], -v[5:6]
	v_mul_f64_e32 v[3:4], s[0:1], v[7:8]
	v_mul_f64_e32 v[5:6], s[0:1], v[5:6]
	s_wait_loadcnt 0x0
	v_mad_co_u64_u32 v[9:10], null, s4, v17, 0
	s_delay_alu instid0(VALU_DEP_1) | instskip(NEXT) | instid1(VALU_DEP_1)
	v_mov_b32_e32 v7, v10
	v_mad_co_u64_u32 v[7:8], null, s5, v17, v[7:8]
	s_delay_alu instid0(VALU_DEP_1) | instskip(NEXT) | instid1(VALU_DEP_1)
	v_mov_b32_e32 v10, v7
	v_lshlrev_b64_e32 v[7:8], 4, v[9:10]
	s_delay_alu instid0(VALU_DEP_1) | instskip(SKIP_1) | instid1(VALU_DEP_2)
	v_add_co_u32 v7, vcc_lo, v0, v7
	s_wait_alu 0xfffd
	v_add_co_ci_u32_e32 v8, vcc_lo, v1, v8, vcc_lo
	v_add_co_u32 v15, vcc_lo, v15, s6
	s_wait_alu 0xfffd
	v_add_co_ci_u32_e32 v16, vcc_lo, s7, v16, vcc_lo
	global_store_b128 v[7:8], v[3:6], off
	global_load_b128 v[3:6], v136, s[12:13] offset:2496
	s_wait_loadcnt_dscnt 0x0
	v_mul_f64_e32 v[7:8], v[13:14], v[5:6]
	v_mul_f64_e32 v[5:6], v[11:12], v[5:6]
	s_delay_alu instid0(VALU_DEP_2) | instskip(NEXT) | instid1(VALU_DEP_2)
	v_fma_f64 v[7:8], v[11:12], v[3:4], v[7:8]
	v_fma_f64 v[5:6], v[3:4], v[13:14], -v[5:6]
	s_delay_alu instid0(VALU_DEP_2) | instskip(NEXT) | instid1(VALU_DEP_2)
	v_mul_f64_e32 v[3:4], s[0:1], v[7:8]
	v_mul_f64_e32 v[5:6], s[0:1], v[5:6]
	global_store_b128 v[15:16], v[3:6], off
	global_load_b128 v[3:6], v136, s[12:13] offset:2688
	ds_load_b128 v[7:10], v2 offset:2688
	ds_load_b128 v[11:14], v2 offset:2880
	s_wait_loadcnt_dscnt 0x1
	v_mul_f64_e32 v[17:18], v[9:10], v[5:6]
	v_mul_f64_e32 v[5:6], v[7:8], v[5:6]
	s_delay_alu instid0(VALU_DEP_2) | instskip(NEXT) | instid1(VALU_DEP_2)
	v_fma_f64 v[7:8], v[7:8], v[3:4], v[17:18]
	v_fma_f64 v[5:6], v[3:4], v[9:10], -v[5:6]
	s_delay_alu instid0(VALU_DEP_2) | instskip(NEXT) | instid1(VALU_DEP_2)
	v_mul_f64_e32 v[3:4], s[0:1], v[7:8]
	v_mul_f64_e32 v[5:6], s[0:1], v[5:6]
	v_add_co_u32 v7, vcc_lo, v15, s2
	s_wait_alu 0xfffd
	v_add_co_ci_u32_e32 v8, vcc_lo, s3, v16, vcc_lo
	global_store_b128 v[7:8], v[3:6], off
	global_load_b128 v[3:6], v136, s[12:13] offset:2880
	v_add_co_u32 v7, vcc_lo, v7, s2
	s_wait_alu 0xfffd
	v_add_co_ci_u32_e32 v8, vcc_lo, s3, v8, vcc_lo
	s_wait_loadcnt_dscnt 0x0
	v_mul_f64_e32 v[9:10], v[13:14], v[5:6]
	v_mul_f64_e32 v[5:6], v[11:12], v[5:6]
	s_delay_alu instid0(VALU_DEP_2) | instskip(NEXT) | instid1(VALU_DEP_2)
	v_fma_f64 v[9:10], v[11:12], v[3:4], v[9:10]
	v_fma_f64 v[5:6], v[3:4], v[13:14], -v[5:6]
	s_delay_alu instid0(VALU_DEP_2) | instskip(NEXT) | instid1(VALU_DEP_2)
	v_mul_f64_e32 v[3:4], s[0:1], v[9:10]
	v_mul_f64_e32 v[5:6], s[0:1], v[5:6]
	global_store_b128 v[7:8], v[3:6], off
	global_load_b128 v[3:6], v136, s[12:13] offset:3072
	ds_load_b128 v[7:10], v2 offset:3072
	s_wait_loadcnt_dscnt 0x0
	v_mul_f64_e32 v[11:12], v[9:10], v[5:6]
	v_mul_f64_e32 v[5:6], v[7:8], v[5:6]
	s_delay_alu instid0(VALU_DEP_2) | instskip(NEXT) | instid1(VALU_DEP_2)
	v_fma_f64 v[7:8], v[7:8], v[3:4], v[11:12]
	v_fma_f64 v[4:5], v[3:4], v[9:10], -v[5:6]
	v_mad_co_u64_u32 v[9:10], null, s4, v255, 0
	s_delay_alu instid0(VALU_DEP_1) | instskip(NEXT) | instid1(VALU_DEP_4)
	v_mov_b32_e32 v6, v10
	v_mul_f64_e32 v[2:3], s[0:1], v[7:8]
	s_delay_alu instid0(VALU_DEP_4) | instskip(NEXT) | instid1(VALU_DEP_3)
	v_mul_f64_e32 v[4:5], s[0:1], v[4:5]
	v_mad_co_u64_u32 v[6:7], null, s5, v255, v[6:7]
	s_delay_alu instid0(VALU_DEP_1) | instskip(NEXT) | instid1(VALU_DEP_1)
	v_mov_b32_e32 v10, v6
	v_lshlrev_b64_e32 v[6:7], 4, v[9:10]
	s_delay_alu instid0(VALU_DEP_1) | instskip(SKIP_1) | instid1(VALU_DEP_2)
	v_add_co_u32 v0, vcc_lo, v0, v6
	s_wait_alu 0xfffd
	v_add_co_ci_u32_e32 v1, vcc_lo, v1, v7, vcc_lo
	global_store_b128 v[0:1], v[2:5], off
.LBB0_15:
	s_nop 0
	s_sendmsg sendmsg(MSG_DEALLOC_VGPRS)
	s_endpgm
	.section	.rodata,"a",@progbits
	.p2align	6, 0x0
	.amdhsa_kernel bluestein_single_back_len204_dim1_dp_op_CI_CI
		.amdhsa_group_segment_fixed_size 22848
		.amdhsa_private_segment_fixed_size 356
		.amdhsa_kernarg_size 104
		.amdhsa_user_sgpr_count 2
		.amdhsa_user_sgpr_dispatch_ptr 0
		.amdhsa_user_sgpr_queue_ptr 0
		.amdhsa_user_sgpr_kernarg_segment_ptr 1
		.amdhsa_user_sgpr_dispatch_id 0
		.amdhsa_user_sgpr_private_segment_size 0
		.amdhsa_wavefront_size32 1
		.amdhsa_uses_dynamic_stack 0
		.amdhsa_enable_private_segment 1
		.amdhsa_system_sgpr_workgroup_id_x 1
		.amdhsa_system_sgpr_workgroup_id_y 0
		.amdhsa_system_sgpr_workgroup_id_z 0
		.amdhsa_system_sgpr_workgroup_info 0
		.amdhsa_system_vgpr_workitem_id 0
		.amdhsa_next_free_vgpr 256
		.amdhsa_next_free_sgpr 58
		.amdhsa_reserve_vcc 1
		.amdhsa_float_round_mode_32 0
		.amdhsa_float_round_mode_16_64 0
		.amdhsa_float_denorm_mode_32 3
		.amdhsa_float_denorm_mode_16_64 3
		.amdhsa_fp16_overflow 0
		.amdhsa_workgroup_processor_mode 1
		.amdhsa_memory_ordered 1
		.amdhsa_forward_progress 0
		.amdhsa_round_robin_scheduling 0
		.amdhsa_exception_fp_ieee_invalid_op 0
		.amdhsa_exception_fp_denorm_src 0
		.amdhsa_exception_fp_ieee_div_zero 0
		.amdhsa_exception_fp_ieee_overflow 0
		.amdhsa_exception_fp_ieee_underflow 0
		.amdhsa_exception_fp_ieee_inexact 0
		.amdhsa_exception_int_div_zero 0
	.end_amdhsa_kernel
	.text
.Lfunc_end0:
	.size	bluestein_single_back_len204_dim1_dp_op_CI_CI, .Lfunc_end0-bluestein_single_back_len204_dim1_dp_op_CI_CI
                                        ; -- End function
	.section	.AMDGPU.csdata,"",@progbits
; Kernel info:
; codeLenInByte = 21388
; NumSgprs: 60
; NumVgprs: 256
; ScratchSize: 356
; MemoryBound: 0
; FloatMode: 240
; IeeeMode: 1
; LDSByteSize: 22848 bytes/workgroup (compile time only)
; SGPRBlocks: 7
; VGPRBlocks: 31
; NumSGPRsForWavesPerEU: 60
; NumVGPRsForWavesPerEU: 256
; Occupancy: 5
; WaveLimiterHint : 1
; COMPUTE_PGM_RSRC2:SCRATCH_EN: 1
; COMPUTE_PGM_RSRC2:USER_SGPR: 2
; COMPUTE_PGM_RSRC2:TRAP_HANDLER: 0
; COMPUTE_PGM_RSRC2:TGID_X_EN: 1
; COMPUTE_PGM_RSRC2:TGID_Y_EN: 0
; COMPUTE_PGM_RSRC2:TGID_Z_EN: 0
; COMPUTE_PGM_RSRC2:TIDIG_COMP_CNT: 0
	.text
	.p2alignl 7, 3214868480
	.fill 96, 4, 3214868480
	.type	__hip_cuid_82e805289002c1c7,@object ; @__hip_cuid_82e805289002c1c7
	.section	.bss,"aw",@nobits
	.globl	__hip_cuid_82e805289002c1c7
__hip_cuid_82e805289002c1c7:
	.byte	0                               ; 0x0
	.size	__hip_cuid_82e805289002c1c7, 1

	.ident	"AMD clang version 19.0.0git (https://github.com/RadeonOpenCompute/llvm-project roc-6.4.0 25133 c7fe45cf4b819c5991fe208aaa96edf142730f1d)"
	.section	".note.GNU-stack","",@progbits
	.addrsig
	.addrsig_sym __hip_cuid_82e805289002c1c7
	.amdgpu_metadata
---
amdhsa.kernels:
  - .args:
      - .actual_access:  read_only
        .address_space:  global
        .offset:         0
        .size:           8
        .value_kind:     global_buffer
      - .actual_access:  read_only
        .address_space:  global
        .offset:         8
        .size:           8
        .value_kind:     global_buffer
      - .actual_access:  read_only
        .address_space:  global
        .offset:         16
        .size:           8
        .value_kind:     global_buffer
      - .actual_access:  read_only
        .address_space:  global
        .offset:         24
        .size:           8
        .value_kind:     global_buffer
      - .actual_access:  read_only
        .address_space:  global
        .offset:         32
        .size:           8
        .value_kind:     global_buffer
      - .offset:         40
        .size:           8
        .value_kind:     by_value
      - .address_space:  global
        .offset:         48
        .size:           8
        .value_kind:     global_buffer
      - .address_space:  global
        .offset:         56
        .size:           8
        .value_kind:     global_buffer
      - .address_space:  global
        .offset:         64
        .size:           8
        .value_kind:     global_buffer
      - .address_space:  global
        .offset:         72
        .size:           8
        .value_kind:     global_buffer
      - .offset:         80
        .size:           4
        .value_kind:     by_value
      - .address_space:  global
        .offset:         88
        .size:           8
        .value_kind:     global_buffer
      - .address_space:  global
        .offset:         96
        .size:           8
        .value_kind:     global_buffer
    .group_segment_fixed_size: 22848
    .kernarg_segment_align: 8
    .kernarg_segment_size: 104
    .language:       OpenCL C
    .language_version:
      - 2
      - 0
    .max_flat_workgroup_size: 119
    .name:           bluestein_single_back_len204_dim1_dp_op_CI_CI
    .private_segment_fixed_size: 356
    .sgpr_count:     60
    .sgpr_spill_count: 0
    .symbol:         bluestein_single_back_len204_dim1_dp_op_CI_CI.kd
    .uniform_work_group_size: 1
    .uses_dynamic_stack: false
    .vgpr_count:     256
    .vgpr_spill_count: 146
    .wavefront_size: 32
    .workgroup_processor_mode: 1
amdhsa.target:   amdgcn-amd-amdhsa--gfx1201
amdhsa.version:
  - 1
  - 2
...

	.end_amdgpu_metadata
